;; amdgpu-corpus repo=ROCm/rocFFT kind=compiled arch=gfx906 opt=O3
	.text
	.amdgcn_target "amdgcn-amd-amdhsa--gfx906"
	.amdhsa_code_object_version 6
	.protected	bluestein_single_fwd_len1105_dim1_sp_op_CI_CI ; -- Begin function bluestein_single_fwd_len1105_dim1_sp_op_CI_CI
	.globl	bluestein_single_fwd_len1105_dim1_sp_op_CI_CI
	.p2align	8
	.type	bluestein_single_fwd_len1105_dim1_sp_op_CI_CI,@function
bluestein_single_fwd_len1105_dim1_sp_op_CI_CI: ; @bluestein_single_fwd_len1105_dim1_sp_op_CI_CI
; %bb.0:
	s_mov_b64 s[26:27], s[2:3]
	v_mul_u32_u24_e32 v1, 0x304, v0
	s_mov_b64 s[24:25], s[0:1]
	s_load_dwordx4 s[0:3], s[4:5], 0x28
	v_lshrrev_b32_e32 v1, 16, v1
	s_add_u32 s24, s24, s7
	v_mad_u64_u32 v[87:88], s[6:7], s6, 3, v[1:2]
	v_mov_b32_e32 v88, 0
	s_addc_u32 s25, s25, 0
	s_waitcnt lgkmcnt(0)
	v_cmp_gt_u64_e32 vcc, s[0:1], v[87:88]
	s_and_saveexec_b64 s[0:1], vcc
	s_cbranch_execz .LBB0_23
; %bb.1:
	s_mov_b32 s0, 0xaaaaaaab
	v_mul_hi_u32 v2, v87, s0
	v_mul_lo_u16_e32 v1, 0x55, v1
	s_load_dwordx2 s[12:13], s[4:5], 0x0
	s_load_dwordx2 s[14:15], s[4:5], 0x38
	v_sub_u16_e32 v98, v0, v1
	v_lshrrev_b32_e32 v0, 1, v2
	v_lshl_add_u32 v0, v0, 1, v0
	v_sub_u32_e32 v0, v87, v0
	v_mul_u32_u24_e32 v97, 0x451, v0
	s_movk_i32 s0, 0x41
	v_cmp_gt_u16_e64 s[0:1], s0, v98
	v_lshlrev_b32_e32 v96, 3, v98
	v_lshlrev_b32_e32 v99, 3, v97
	s_and_saveexec_b64 s[6:7], s[0:1]
	s_cbranch_execz .LBB0_3
; %bb.2:
	s_load_dwordx2 s[8:9], s[4:5], 0x18
	s_waitcnt lgkmcnt(0)
	v_mov_b32_e32 v20, s13
	s_load_dwordx4 s[8:11], s[8:9], 0x0
	s_waitcnt lgkmcnt(0)
	v_mad_u64_u32 v[0:1], s[16:17], s10, v87, 0
	v_mad_u64_u32 v[2:3], s[16:17], s8, v98, 0
	;; [unrolled: 1-line block ×4, first 2 shown]
	v_mov_b32_e32 v1, v4
	v_lshlrev_b64 v[0:1], 3, v[0:1]
	v_mov_b32_e32 v3, v5
	v_mov_b32_e32 v6, s3
	v_lshlrev_b64 v[2:3], 3, v[2:3]
	v_add_co_u32_e32 v0, vcc, s2, v0
	v_addc_co_u32_e32 v1, vcc, v6, v1, vcc
	v_add_co_u32_e32 v0, vcc, v0, v2
	v_addc_co_u32_e32 v1, vcc, v1, v3, vcc
	s_movk_i32 s2, 0x1000
	v_add_co_u32_e32 v21, vcc, s12, v96
	v_addc_co_u32_e32 v24, vcc, 0, v20, vcc
	v_add_co_u32_e64 v22, s[2:3], s2, v21
	v_addc_co_u32_e64 v23, s[2:3], 0, v24, s[2:3]
	v_add_co_u32_e32 v20, vcc, 0x2000, v21
	s_mul_i32 s2, s9, 0x208
	s_mul_hi_u32 s3, s8, 0x208
	v_addc_co_u32_e32 v21, vcc, 0, v24, vcc
	s_mulk_i32 s8, 0x208
	s_add_i32 s2, s3, s2
	global_load_dwordx2 v[2:3], v[0:1], off
	global_load_dwordx2 v[4:5], v96, s[12:13]
	global_load_dwordx2 v[6:7], v96, s[12:13] offset:520
	global_load_dwordx2 v[8:9], v96, s[12:13] offset:1040
	;; [unrolled: 1-line block ×7, first 2 shown]
	global_load_dwordx2 v[24:25], v[22:23], off offset:64
	global_load_dwordx2 v[26:27], v[20:21], off offset:128
	v_mov_b32_e32 v20, s2
	v_add_co_u32_e32 v0, vcc, s8, v0
	v_addc_co_u32_e32 v1, vcc, v1, v20, vcc
	v_mov_b32_e32 v21, s2
	v_add_co_u32_e32 v20, vcc, s8, v0
	v_addc_co_u32_e32 v21, vcc, v1, v21, vcc
	v_mov_b32_e32 v29, s2
	v_add_co_u32_e32 v28, vcc, s8, v20
	v_addc_co_u32_e32 v29, vcc, v21, v29, vcc
	v_mov_b32_e32 v36, s2
	global_load_dwordx2 v[30:31], v[0:1], off
	global_load_dwordx2 v[32:33], v[20:21], off
	;; [unrolled: 1-line block ×3, first 2 shown]
	v_add_co_u32_e32 v0, vcc, s8, v28
	v_addc_co_u32_e32 v1, vcc, v29, v36, vcc
	v_mov_b32_e32 v37, s2
	global_load_dwordx2 v[20:21], v[0:1], off
	v_add_co_u32_e32 v0, vcc, s8, v0
	v_addc_co_u32_e32 v1, vcc, v1, v37, vcc
	v_mov_b32_e32 v38, s2
	global_load_dwordx2 v[28:29], v[0:1], off
	;; [unrolled: 4-line block ×5, first 2 shown]
	v_add_co_u32_e32 v0, vcc, s8, v0
	v_addc_co_u32_e32 v1, vcc, v1, v43, vcc
	global_load_dwordx2 v[44:45], v[0:1], off
	v_add_co_u32_e32 v0, vcc, s8, v0
	v_addc_co_u32_e32 v1, vcc, v1, v43, vcc
	global_load_dwordx2 v[46:47], v[0:1], off
	;; [unrolled: 3-line block ×3, first 2 shown]
	global_load_dwordx2 v[50:51], v[22:23], off offset:584
	global_load_dwordx2 v[52:53], v[22:23], off offset:1104
	;; [unrolled: 1-line block ×3, first 2 shown]
	v_add_co_u32_e32 v0, vcc, s8, v0
	v_addc_co_u32_e32 v1, vcc, v1, v43, vcc
	global_load_dwordx2 v[56:57], v[0:1], off
	global_load_dwordx2 v[58:59], v[22:23], off offset:2144
	v_add_co_u32_e32 v0, vcc, s8, v0
	v_addc_co_u32_e32 v1, vcc, v1, v43, vcc
	global_load_dwordx2 v[60:61], v[0:1], off
	v_add_co_u32_e32 v0, vcc, s8, v0
	v_addc_co_u32_e32 v1, vcc, v1, v43, vcc
	global_load_dwordx2 v[62:63], v[0:1], off
	global_load_dwordx2 v[64:65], v[22:23], off offset:2664
	global_load_dwordx2 v[66:67], v[22:23], off offset:3184
	v_add_co_u32_e32 v0, vcc, s8, v0
	v_addc_co_u32_e32 v1, vcc, v1, v43, vcc
	global_load_dwordx2 v[68:69], v[0:1], off
	global_load_dwordx2 v[70:71], v[22:23], off offset:3704
	v_mov_b32_e32 v22, s2
	v_add_co_u32_e32 v0, vcc, s8, v0
	v_addc_co_u32_e32 v1, vcc, v1, v22, vcc
	global_load_dwordx2 v[0:1], v[0:1], off
	s_waitcnt vmcnt(32)
	v_mul_f32_e32 v42, v3, v5
	v_fmac_f32_e32 v42, v2, v4
	v_mul_f32_e32 v2, v2, v5
	v_lshl_add_u32 v22, v98, 3, v99
	v_fma_f32 v43, v3, v4, -v2
	ds_write_b64 v22, v[42:43]
	s_waitcnt vmcnt(22)
	v_mul_f32_e32 v2, v31, v7
	v_mul_f32_e32 v3, v30, v7
	s_waitcnt vmcnt(21)
	v_mul_f32_e32 v4, v33, v9
	v_mul_f32_e32 v5, v32, v9
	v_fmac_f32_e32 v2, v30, v6
	v_add_u32_e32 v22, v99, v96
	v_fma_f32 v3, v31, v6, -v3
	v_fmac_f32_e32 v4, v32, v8
	v_fma_f32 v5, v33, v8, -v5
	ds_write2_b64 v22, v[2:3], v[4:5] offset0:65 offset1:130
	s_waitcnt vmcnt(20)
	v_mul_f32_e32 v2, v35, v11
	v_mul_f32_e32 v3, v34, v11
	s_waitcnt vmcnt(19)
	v_mul_f32_e32 v4, v21, v13
	v_mul_f32_e32 v5, v20, v13
	v_fmac_f32_e32 v2, v34, v10
	v_fma_f32 v3, v35, v10, -v3
	v_fmac_f32_e32 v4, v20, v12
	v_fma_f32 v5, v21, v12, -v5
	v_add_u32_e32 v6, 0x400, v22
	ds_write2_b64 v6, v[2:3], v[4:5] offset0:67 offset1:132
	s_waitcnt vmcnt(18)
	v_mul_f32_e32 v2, v29, v15
	v_mul_f32_e32 v3, v28, v15
	s_waitcnt vmcnt(17)
	v_mul_f32_e32 v4, v37, v17
	v_mul_f32_e32 v5, v36, v17
	v_fmac_f32_e32 v2, v28, v14
	v_fma_f32 v3, v29, v14, -v3
	v_fmac_f32_e32 v4, v36, v16
	v_fma_f32 v5, v37, v16, -v5
	v_add_u32_e32 v6, 0x800, v22
	;; [unrolled: 12-line block ×3, first 2 shown]
	ds_write2_b64 v6, v[2:3], v[4:5] offset0:71 offset1:136
	v_add_u32_e32 v6, 0x1000, v22
	s_waitcnt vmcnt(11)
	v_mul_f32_e32 v2, v45, v51
	v_mul_f32_e32 v3, v44, v51
	s_waitcnt vmcnt(10)
	v_mul_f32_e32 v4, v47, v53
	v_mul_f32_e32 v5, v46, v53
	v_fmac_f32_e32 v2, v44, v50
	v_fma_f32 v3, v45, v50, -v3
	v_fmac_f32_e32 v4, v46, v52
	v_fma_f32 v5, v47, v52, -v5
	ds_write2_b64 v6, v[2:3], v[4:5] offset0:73 offset1:138
	s_waitcnt vmcnt(9)
	v_mul_f32_e32 v2, v49, v55
	v_mul_f32_e32 v3, v48, v55
	s_waitcnt vmcnt(7)
	v_mul_f32_e32 v4, v57, v59
	v_mul_f32_e32 v5, v56, v59
	v_fmac_f32_e32 v2, v48, v54
	v_fma_f32 v3, v49, v54, -v3
	v_fmac_f32_e32 v4, v56, v58
	v_fma_f32 v5, v57, v58, -v5
	v_add_u32_e32 v6, 0x1400, v22
	ds_write2_b64 v6, v[2:3], v[4:5] offset0:75 offset1:140
	s_waitcnt vmcnt(4)
	v_mul_f32_e32 v2, v61, v65
	v_mul_f32_e32 v3, v60, v65
	s_waitcnt vmcnt(3)
	v_mul_f32_e32 v4, v63, v67
	v_mul_f32_e32 v5, v62, v67
	v_fmac_f32_e32 v2, v60, v64
	v_fma_f32 v3, v61, v64, -v3
	v_fmac_f32_e32 v4, v62, v66
	v_fma_f32 v5, v63, v66, -v5
	v_add_u32_e32 v6, 0x1800, v22
	ds_write2_b64 v6, v[2:3], v[4:5] offset0:77 offset1:142
	s_waitcnt vmcnt(0)
	v_mul_f32_e32 v4, v1, v27
	v_mul_f32_e32 v2, v69, v71
	;; [unrolled: 1-line block ×3, first 2 shown]
	v_fmac_f32_e32 v4, v0, v26
	v_mul_f32_e32 v0, v0, v27
	v_fmac_f32_e32 v2, v68, v70
	v_fma_f32 v3, v69, v70, -v3
	v_fma_f32 v5, v1, v26, -v0
	v_add_u32_e32 v0, 0x1c00, v22
	ds_write2_b64 v0, v[2:3], v[4:5] offset0:79 offset1:144
.LBB0_3:
	s_or_b64 exec, exec, s[6:7]
	s_load_dwordx2 s[2:3], s[4:5], 0x20
	s_load_dwordx2 s[8:9], s[4:5], 0x8
	v_mov_b32_e32 v4, 0
	v_mov_b32_e32 v5, 0
	s_waitcnt lgkmcnt(0)
	s_barrier
	s_waitcnt lgkmcnt(0)
                                        ; implicit-def: $vgpr10
                                        ; implicit-def: $vgpr12
                                        ; implicit-def: $vgpr28
                                        ; implicit-def: $vgpr32
                                        ; implicit-def: $vgpr36
                                        ; implicit-def: $vgpr26
                                        ; implicit-def: $vgpr22
                                        ; implicit-def: $vgpr18
	s_and_saveexec_b64 s[4:5], s[0:1]
	s_cbranch_execz .LBB0_5
; %bb.4:
	v_lshl_add_u32 v0, v97, 3, v96
	v_add_u32_e32 v1, 0x800, v0
	ds_read2_b64 v[4:7], v0 offset1:65
	ds_read2_b64 v[16:19], v0 offset0:130 offset1:195
	ds_read2_b64 v[20:23], v1 offset0:4 offset1:69
	;; [unrolled: 1-line block ×3, first 2 shown]
	v_add_u32_e32 v1, 0x1000, v0
	ds_read2_b64 v[8:11], v1 offset0:8 offset1:73
	ds_read2_b64 v[12:15], v1 offset0:138 offset1:203
	v_add_u32_e32 v1, 0x1800, v0
	ds_read2_b64 v[28:31], v1 offset0:12 offset1:77
	ds_read2_b64 v[32:35], v1 offset0:142 offset1:207
	ds_read_b64 v[36:37], v0 offset:8320
.LBB0_5:
	s_or_b64 exec, exec, s[4:5]
	s_waitcnt lgkmcnt(0)
	v_sub_f32_e32 v80, v7, v37
	v_mul_f32_e32 v53, 0xbeb8f4ab, v80
	v_sub_f32_e32 v91, v17, v35
	v_add_f32_e32 v40, v36, v6
	v_sub_f32_e32 v90, v6, v36
	v_mov_b32_e32 v0, v53
	v_mul_f32_e32 v57, 0xbf2c7751, v91
	v_add_f32_e32 v41, v37, v7
	s_mov_b32 s6, 0x3f6eb680
	v_mul_f32_e32 v55, 0xbeb8f4ab, v90
	v_fmac_f32_e32 v0, 0x3f6eb680, v40
	v_add_f32_e32 v42, v34, v16
	v_sub_f32_e32 v102, v16, v34
	v_mov_b32_e32 v44, v57
	v_add_f32_e32 v0, v0, v4
	v_fma_f32 v1, v41, s6, -v55
	s_mov_b32 s7, 0x3f3d2fb0
	v_mul_f32_e32 v58, 0xbf2c7751, v80
	v_add_f32_e32 v43, v35, v17
	v_mul_f32_e32 v60, 0xbf2c7751, v102
	v_fmac_f32_e32 v44, 0x3f3d2fb0, v42
	v_add_f32_e32 v1, v1, v5
	v_mov_b32_e32 v2, v58
	v_add_f32_e32 v0, v44, v0
	v_fma_f32 v44, v43, s7, -v60
	v_mul_f32_e32 v65, 0xbf7ee86f, v91
	v_mul_f32_e32 v63, 0xbf2c7751, v90
	v_fmac_f32_e32 v2, 0x3f3d2fb0, v40
	v_add_f32_e32 v1, v44, v1
	v_mov_b32_e32 v44, v65
	v_add_f32_e32 v2, v2, v4
	v_fma_f32 v3, v41, s7, -v63
	v_mul_f32_e32 v66, 0xbf65296c, v80
	s_mov_b32 s11, 0x3dbcf732
	v_mul_f32_e32 v68, 0xbf7ee86f, v102
	v_fmac_f32_e32 v44, 0x3dbcf732, v42
	v_add_f32_e32 v3, v3, v5
	v_mov_b32_e32 v38, v66
	v_add_f32_e32 v2, v44, v2
	v_fma_f32 v44, v43, s11, -v68
	v_mul_f32_e32 v72, 0xbf4c4adb, v91
	s_mov_b32 s10, 0x3ee437d1
	v_mul_f32_e32 v70, 0xbf65296c, v90
	v_fmac_f32_e32 v38, 0x3ee437d1, v40
	v_add_f32_e32 v3, v44, v3
	v_mov_b32_e32 v44, v72
	v_add_f32_e32 v38, v38, v4
	v_fma_f32 v39, v41, s10, -v70
	s_mov_b32 s16, 0xbf1a4643
	v_mul_f32_e32 v76, 0xbf4c4adb, v102
	v_fmac_f32_e32 v44, 0xbf1a4643, v42
	v_sub_f32_e32 v103, v19, v33
	v_add_f32_e32 v39, v39, v5
	v_add_f32_e32 v38, v44, v38
	v_fma_f32 v44, v43, s16, -v76
	v_mul_f32_e32 v64, 0xbf65296c, v103
	v_add_f32_e32 v39, v44, v39
	v_add_f32_e32 v44, v32, v18
	v_sub_f32_e32 v108, v18, v32
	v_mov_b32_e32 v46, v64
	v_add_f32_e32 v45, v33, v19
	v_mul_f32_e32 v67, 0xbf65296c, v108
	v_fmac_f32_e32 v46, 0x3ee437d1, v44
	v_add_f32_e32 v0, v46, v0
	v_fma_f32 v46, v45, s10, -v67
	v_mul_f32_e32 v71, 0xbf4c4adb, v103
	v_add_f32_e32 v1, v46, v1
	v_mov_b32_e32 v46, v71
	v_mul_f32_e32 v74, 0xbf4c4adb, v108
	v_fmac_f32_e32 v46, 0xbf1a4643, v44
	v_add_f32_e32 v2, v46, v2
	v_fma_f32 v46, v45, s16, -v74
	v_mul_f32_e32 v78, 0x3e3c28d5, v103
	v_add_f32_e32 v3, v46, v3
	v_mov_b32_e32 v46, v78
	s_mov_b32 s17, 0xbf7ba420
	v_mul_f32_e32 v83, 0x3e3c28d5, v108
	v_fmac_f32_e32 v46, 0xbf7ba420, v44
	v_sub_f32_e32 v109, v21, v31
	v_add_f32_e32 v38, v46, v38
	v_fma_f32 v46, v45, s17, -v83
	v_mul_f32_e32 v69, 0xbf7ee86f, v109
	v_add_f32_e32 v39, v46, v39
	v_add_f32_e32 v46, v30, v20
	v_sub_f32_e32 v112, v20, v30
	v_mov_b32_e32 v48, v69
	v_add_f32_e32 v47, v31, v21
	v_mul_f32_e32 v73, 0xbf7ee86f, v112
	v_fmac_f32_e32 v48, 0x3dbcf732, v46
	v_add_f32_e32 v0, v48, v0
	v_fma_f32 v48, v47, s11, -v73
	v_mul_f32_e32 v77, 0xbe3c28d5, v109
	v_add_f32_e32 v1, v48, v1
	v_mov_b32_e32 v48, v77
	v_mul_f32_e32 v81, 0xbe3c28d5, v112
	v_fmac_f32_e32 v48, 0xbf7ba420, v46
	v_add_f32_e32 v2, v48, v2
	v_fma_f32 v48, v47, s17, -v81
	v_mul_f32_e32 v85, 0x3f763a35, v109
	v_add_f32_e32 v3, v48, v3
	v_mov_b32_e32 v48, v85
	s_mov_b32 s18, 0xbe8c1d8e
	v_mul_f32_e32 v94, 0x3f763a35, v112
	v_fmac_f32_e32 v48, 0xbe8c1d8e, v46
	v_sub_f32_e32 v113, v23, v29
	v_add_f32_e32 v38, v48, v38
	v_fma_f32 v48, v47, s18, -v94
	v_mul_f32_e32 v75, 0xbf763a35, v113
	v_add_f32_e32 v39, v48, v39
	v_add_f32_e32 v48, v28, v22
	v_sub_f32_e32 v115, v22, v28
	v_mov_b32_e32 v50, v75
	v_add_f32_e32 v49, v29, v23
	v_mul_f32_e32 v79, 0xbf763a35, v115
	v_fmac_f32_e32 v50, 0xbe8c1d8e, v48
	v_add_f32_e32 v0, v50, v0
	v_fma_f32 v50, v49, s18, -v79
	v_mul_f32_e32 v84, 0x3f06c442, v113
	v_add_f32_e32 v1, v50, v1
	v_mov_b32_e32 v50, v84
	s_mov_b32 s19, 0xbf59a7d5
	v_mul_f32_e32 v92, 0x3f06c442, v115
	v_fmac_f32_e32 v50, 0xbf59a7d5, v48
	v_sub_f32_e32 v116, v25, v15
	v_add_f32_e32 v2, v50, v2
	v_fma_f32 v50, v49, s19, -v92
	v_mul_f32_e32 v82, 0xbf4c4adb, v116
	v_add_f32_e32 v3, v50, v3
	v_add_f32_e32 v50, v14, v24
	v_sub_f32_e32 v122, v24, v14
	v_mov_b32_e32 v52, v82
	v_add_f32_e32 v51, v15, v25
	v_mul_f32_e32 v86, 0xbf4c4adb, v122
	v_fmac_f32_e32 v52, 0xbf1a4643, v50
	v_add_f32_e32 v0, v52, v0
	v_fma_f32 v52, v51, s16, -v86
	v_mul_f32_e32 v95, 0x3f763a35, v116
	v_add_f32_e32 v1, v52, v1
	v_mov_b32_e32 v52, v95
	v_mul_f32_e32 v104, 0x3f763a35, v122
	v_fmac_f32_e32 v52, 0xbe8c1d8e, v50
	v_sub_f32_e32 v124, v27, v13
	v_add_f32_e32 v2, v52, v2
	v_fma_f32 v52, v51, s18, -v104
	v_mul_f32_e32 v93, 0xbf06c442, v124
	v_add_f32_e32 v3, v52, v3
	v_add_f32_e32 v52, v12, v26
	v_sub_f32_e32 v126, v26, v12
	v_mov_b32_e32 v56, v93
	v_add_f32_e32 v54, v13, v27
	v_mul_f32_e32 v100, 0xbf06c442, v126
	v_fmac_f32_e32 v56, 0xbf59a7d5, v52
	v_add_f32_e32 v0, v56, v0
	v_fma_f32 v56, v54, s19, -v100
	v_mul_f32_e32 v106, 0x3f65296c, v124
	v_add_f32_e32 v1, v56, v1
	v_mov_b32_e32 v56, v106
	v_mul_f32_e32 v110, 0x3f65296c, v126
	v_fmac_f32_e32 v56, 0x3ee437d1, v52
	v_sub_f32_e32 v127, v9, v11
	v_add_f32_e32 v2, v56, v2
	v_fma_f32 v56, v54, s10, -v110
	v_mul_f32_e32 v105, 0xbe3c28d5, v127
	v_add_f32_e32 v3, v56, v3
	v_add_f32_e32 v56, v10, v8
	v_sub_f32_e32 v132, v8, v10
	v_mov_b32_e32 v61, v105
	v_add_f32_e32 v59, v11, v9
	v_mul_f32_e32 v107, 0xbe3c28d5, v132
	v_fmac_f32_e32 v61, 0xbf7ba420, v56
	v_add_f32_e32 v88, v61, v0
	v_fma_f32 v0, v59, s17, -v107
	v_mul_f32_e32 v111, 0x3eb8f4ab, v127
	v_add_f32_e32 v89, v0, v1
	v_mov_b32_e32 v0, v111
	v_mul_f32_e32 v114, 0x3eb8f4ab, v132
	v_fmac_f32_e32 v0, 0x3f6eb680, v56
	v_mul_f32_e32 v101, 0x3f2c7751, v113
	v_add_f32_e32 v2, v0, v2
	v_fma_f32 v0, v59, s6, -v114
	v_add_f32_e32 v3, v0, v3
	v_mov_b32_e32 v0, v101
	v_fmac_f32_e32 v0, 0x3f3d2fb0, v48
	v_mul_f32_e32 v117, 0xbeb8f4ab, v116
	v_mul_f32_e32 v120, 0x3f2c7751, v115
	v_add_f32_e32 v0, v0, v38
	v_mov_b32_e32 v38, v117
	v_fma_f32 v1, v49, s7, -v120
	v_fmac_f32_e32 v38, 0x3f6eb680, v50
	v_mul_f32_e32 v121, 0xbeb8f4ab, v122
	v_add_f32_e32 v1, v1, v39
	v_add_f32_e32 v0, v38, v0
	v_fma_f32 v38, v51, s6, -v121
	v_mul_f32_e32 v118, 0xbf7ee86f, v124
	v_add_f32_e32 v1, v38, v1
	v_mov_b32_e32 v38, v118
	v_fmac_f32_e32 v38, 0x3dbcf732, v52
	v_mul_f32_e32 v123, 0xbf7ee86f, v126
	v_add_f32_e32 v0, v38, v0
	v_fma_f32 v38, v54, s11, -v123
	v_mul_f32_e32 v119, 0xbf06c442, v127
	v_add_f32_e32 v1, v38, v1
	v_mov_b32_e32 v38, v119
	v_fmac_f32_e32 v38, 0xbf59a7d5, v56
	v_mul_f32_e32 v125, 0xbf06c442, v132
	v_add_f32_e32 v0, v38, v0
	v_fma_f32 v38, v59, s19, -v125
	v_mul_f32_e32 v128, 0xbf7ee86f, v80
	v_add_f32_e32 v1, v38, v1
	v_mov_b32_e32 v38, v128
	v_mul_f32_e32 v129, 0xbe3c28d5, v91
	v_fmac_f32_e32 v38, 0x3dbcf732, v40
	v_mov_b32_e32 v39, v129
	v_add_f32_e32 v38, v38, v4
	v_fmac_f32_e32 v39, 0xbf7ba420, v42
	v_mul_f32_e32 v137, 0xbf7ee86f, v90
	v_add_f32_e32 v38, v39, v38
	v_fma_f32 v39, v41, s11, -v137
	v_mul_f32_e32 v138, 0xbe3c28d5, v102
	v_add_f32_e32 v39, v39, v5
	v_fma_f32 v61, v43, s17, -v138
	v_mul_f32_e32 v130, 0x3f763a35, v103
	v_add_f32_e32 v39, v61, v39
	v_mov_b32_e32 v61, v130
	v_fmac_f32_e32 v61, 0xbe8c1d8e, v44
	v_mul_f32_e32 v139, 0x3f763a35, v108
	v_add_f32_e32 v38, v61, v38
	v_fma_f32 v61, v45, s18, -v139
	v_mul_f32_e32 v131, 0x3eb8f4ab, v109
	v_add_f32_e32 v39, v61, v39
	v_mov_b32_e32 v61, v131
	v_fmac_f32_e32 v61, 0x3f6eb680, v46
	;; [unrolled: 7-line block ×5, first 2 shown]
	v_mul_f32_e32 v143, 0x3f4c4adb, v126
	v_add_f32_e32 v38, v61, v38
	v_fma_f32 v61, v54, s16, -v143
	v_mul_f32_e32 v136, 0x3f2c7751, v127
	v_add_f32_e32 v39, v61, v39
	v_mov_b32_e32 v61, v136
	v_mul_f32_e32 v144, 0x3f2c7751, v132
	v_fmac_f32_e32 v61, 0x3f3d2fb0, v56
	v_fma_f32 v62, v59, s7, -v144
	v_add_f32_e32 v61, v61, v38
	v_add_f32_e32 v62, v62, v39
	s_barrier
	s_and_saveexec_b64 s[4:5], s[0:1]
	s_cbranch_execz .LBB0_7
; %bb.6:
	v_mul_f32_e32 v201, 0xbe3c28d5, v90
	v_mov_b32_e32 v38, v201
	v_mul_f32_e32 v202, 0x3eb8f4ab, v102
	v_fmac_f32_e32 v38, 0xbf7ba420, v41
	v_mov_b32_e32 v39, v202
	v_add_f32_e32 v38, v38, v5
	v_fmac_f32_e32 v39, 0x3f6eb680, v43
	v_mul_f32_e32 v203, 0xbf06c442, v108
	v_add_f32_e32 v38, v39, v38
	v_mov_b32_e32 v39, v203
	v_fmac_f32_e32 v39, 0xbf59a7d5, v45
	v_mul_f32_e32 v204, 0x3f2c7751, v112
	v_add_f32_e32 v38, v39, v38
	v_mov_b32_e32 v39, v204
	;; [unrolled: 4-line block ×6, first 2 shown]
	v_fmac_f32_e32 v39, 0x3dbcf732, v59
	v_mul_f32_e32 v209, 0xbe3c28d5, v80
	v_add_f32_e32 v39, v39, v38
	v_fma_f32 v38, v40, s17, -v209
	v_mul_f32_e32 v210, 0x3eb8f4ab, v91
	v_add_f32_e32 v38, v38, v4
	v_fma_f32 v145, v42, s6, -v210
	;; [unrolled: 3-line block ×8, first 2 shown]
	v_mul_f32_e32 v217, 0xbf06c442, v90
	v_add_f32_e32 v38, v145, v38
	v_mov_b32_e32 v145, v217
	v_mul_f32_e32 v218, 0x3f65296c, v102
	v_fmac_f32_e32 v145, 0xbf59a7d5, v41
	v_mov_b32_e32 v146, v218
	v_add_f32_e32 v145, v145, v5
	v_fmac_f32_e32 v146, 0x3ee437d1, v43
	v_mul_f32_e32 v219, 0xbf7ee86f, v108
	v_add_f32_e32 v145, v146, v145
	v_mov_b32_e32 v146, v219
	v_fmac_f32_e32 v146, 0x3dbcf732, v45
	v_mul_f32_e32 v220, 0x3f4c4adb, v112
	v_add_f32_e32 v145, v146, v145
	v_mov_b32_e32 v146, v220
	;; [unrolled: 4-line block ×6, first 2 shown]
	v_fmac_f32_e32 v146, 0xbe8c1d8e, v59
	v_mul_f32_e32 v225, 0xbf06c442, v80
	v_add_f32_e32 v146, v146, v145
	v_fma_f32 v145, v40, s19, -v225
	v_mul_f32_e32 v226, 0x3f65296c, v91
	v_add_f32_e32 v145, v145, v4
	v_fma_f32 v147, v42, s10, -v226
	;; [unrolled: 3-line block ×8, first 2 shown]
	v_mul_f32_e32 v233, 0xbf4c4adb, v90
	v_mul_f32_e32 v249, 0xbf763a35, v90
	v_add_f32_e32 v145, v147, v145
	v_mov_b32_e32 v147, v233
	v_mul_f32_e32 v234, 0x3f763a35, v102
	v_mov_b32_e32 v90, v249
	v_mul_f32_e32 v250, 0x3f06c442, v102
	v_fmac_f32_e32 v147, 0xbf1a4643, v41
	v_mov_b32_e32 v148, v234
	v_fmac_f32_e32 v90, 0xbe8c1d8e, v41
	v_mov_b32_e32 v102, v250
	v_add_f32_e32 v147, v147, v5
	v_fmac_f32_e32 v148, 0xbe8c1d8e, v43
	v_mul_f32_e32 v235, 0xbeb8f4ab, v108
	v_add_f32_e32 v90, v90, v5
	v_fmac_f32_e32 v102, 0xbf59a7d5, v43
	v_mul_f32_e32 v108, 0x3f2c7751, v108
	v_add_f32_e32 v147, v148, v147
	v_mov_b32_e32 v148, v235
	v_add_f32_e32 v90, v102, v90
	v_mov_b32_e32 v102, v108
	v_fmac_f32_e32 v148, 0x3f6eb680, v45
	v_mul_f32_e32 v236, 0xbf06c442, v112
	v_fmac_f32_e32 v102, 0x3f3d2fb0, v45
	v_mul_f32_e32 v112, 0xbf65296c, v112
	v_add_f32_e32 v147, v148, v147
	v_mov_b32_e32 v148, v236
	v_add_f32_e32 v90, v102, v90
	v_mov_b32_e32 v102, v112
	v_fmac_f32_e32 v148, 0xbf59a7d5, v47
	v_mul_f32_e32 v237, 0x3f7ee86f, v115
	v_fmac_f32_e32 v102, 0x3ee437d1, v47
	v_mul_f32_e32 v115, 0xbe3c28d5, v115
	v_add_f32_e32 v147, v148, v147
	v_mov_b32_e32 v148, v237
	v_add_f32_e32 v90, v102, v90
	v_mov_b32_e32 v102, v115
	v_fmac_f32_e32 v148, 0x3dbcf732, v49
	v_mul_f32_e32 v238, 0xbf2c7751, v122
	v_fmac_f32_e32 v102, 0xbf7ba420, v49
	v_mul_f32_e32 v122, 0x3f7ee86f, v122
	v_add_f32_e32 v147, v148, v147
	v_mov_b32_e32 v148, v238
	v_add_f32_e32 v90, v102, v90
	v_mov_b32_e32 v102, v122
	v_fmac_f32_e32 v148, 0x3f3d2fb0, v51
	v_mul_f32_e32 v239, 0xbe3c28d5, v126
	v_fmac_f32_e32 v102, 0x3dbcf732, v51
	v_mul_f32_e32 v126, 0xbeb8f4ab, v126
	v_add_f32_e32 v147, v148, v147
	v_mov_b32_e32 v148, v239
	v_add_f32_e32 v90, v102, v90
	v_mov_b32_e32 v102, v126
	v_fmac_f32_e32 v148, 0xbf7ba420, v54
	v_mul_f32_e32 v240, 0x3f65296c, v132
	v_fmac_f32_e32 v102, 0x3f6eb680, v54
	v_mul_f32_e32 v132, 0xbf4c4adb, v132
	v_add_f32_e32 v147, v148, v147
	v_mov_b32_e32 v148, v240
	v_add_f32_e32 v90, v102, v90
	v_mov_b32_e32 v102, v132
	v_fmac_f32_e32 v148, 0x3ee437d1, v59
	v_mul_f32_e32 v241, 0xbf4c4adb, v80
	v_fmac_f32_e32 v102, 0xbf1a4643, v59
	v_mul_f32_e32 v80, 0xbf763a35, v80
	v_add_f32_e32 v148, v148, v147
	v_fma_f32 v147, v40, s16, -v241
	v_mul_f32_e32 v242, 0x3f763a35, v91
	v_add_f32_e32 v150, v102, v90
	v_fma_f32 v90, v40, s18, -v80
	;; [unrolled: 3-line block ×12, first 2 shown]
	v_mul_f32_e32 v124, 0xbeb8f4ab, v124
	v_mul_f32_e32 v156, 0x3ee437d1, v41
	v_add_f32_e32 v147, v149, v147
	v_fma_f32 v149, v52, s17, -v247
	v_mul_f32_e32 v248, 0x3f65296c, v127
	v_add_f32_e32 v90, v91, v90
	v_fma_f32 v91, v52, s6, -v124
	v_mul_f32_e32 v127, 0xbf4c4adb, v127
	v_mul_f32_e32 v158, 0x3dbcf732, v41
	;; [unrolled: 1-line block ×3, first 2 shown]
	v_add_f32_e32 v147, v149, v147
	v_fma_f32 v149, v56, s10, -v248
	v_add_f32_e32 v90, v91, v90
	v_fma_f32 v91, v56, s16, -v127
	v_add_f32_e32 v70, v70, v156
	v_mul_f32_e32 v166, 0xbf7ba420, v43
	v_mul_f32_e32 v172, 0xbf7ba420, v45
	v_add_f32_e32 v147, v149, v147
	v_add_f32_e32 v149, v91, v90
	;; [unrolled: 1-line block ×5, first 2 shown]
	v_mul_f32_e32 v174, 0xbe8c1d8e, v45
	v_mul_f32_e32 v180, 0xbe8c1d8e, v47
	v_add_f32_e32 v91, v138, v166
	v_add_f32_e32 v90, v90, v5
	v_add_f32_e32 v70, v76, v70
	v_add_f32_e32 v76, v83, v172
	v_mul_f32_e32 v182, 0x3f6eb680, v47
	v_mul_f32_e32 v188, 0x3f3d2fb0, v49
	v_add_f32_e32 v90, v91, v90
	v_add_f32_e32 v91, v139, v174
	v_add_f32_e32 v70, v76, v70
	v_add_f32_e32 v76, v94, v180
	;; [unrolled: 6-line block ×4, first 2 shown]
	v_mul_f32_e32 v155, 0x3ee437d1, v40
	v_add_f32_e32 v90, v91, v90
	v_add_f32_e32 v91, v142, v198
	v_mul_f32_e32 v142, 0xbf59a7d5, v59
	v_add_f32_e32 v70, v76, v70
	v_add_f32_e32 v76, v123, v102
	;; [unrolled: 3-line block ×3, first 2 shown]
	v_sub_f32_e32 v66, v155, v66
	v_mul_f32_e32 v171, 0xbf7ba420, v44
	v_add_f32_e32 v102, v76, v70
	v_add_f32_e32 v66, v66, v4
	v_sub_f32_e32 v70, v163, v72
	v_mul_f32_e32 v179, 0xbe8c1d8e, v46
	v_add_f32_e32 v66, v70, v66
	v_sub_f32_e32 v70, v171, v78
	v_mul_f32_e32 v187, 0x3f3d2fb0, v48
	;; [unrolled: 3-line block ×5, first 2 shown]
	v_mul_f32_e32 v174, 0xbf59a7d5, v56
	v_add_f32_e32 v66, v70, v66
	v_sub_f32_e32 v70, v137, v118
	v_mul_f32_e32 v162, 0x3dbcf732, v43
	v_add_f32_e32 v66, v70, v66
	v_sub_f32_e32 v70, v174, v119
	v_add_f32_e32 v63, v63, v154
	v_mul_f32_e32 v170, 0xbf1a4643, v45
	v_add_f32_e32 v101, v70, v66
	v_add_f32_e32 v63, v63, v5
	;; [unrolled: 1-line block ×3, first 2 shown]
	v_mul_f32_e32 v178, 0xbf7ba420, v47
	v_add_f32_e32 v63, v66, v63
	v_add_f32_e32 v66, v74, v170
	v_mul_f32_e32 v186, 0xbf59a7d5, v49
	v_add_f32_e32 v63, v66, v63
	v_add_f32_e32 v66, v81, v178
	;; [unrolled: 3-line block ×4, first 2 shown]
	v_mul_f32_e32 v153, 0x3f3d2fb0, v40
	v_mul_f32_e32 v141, 0x3f6eb680, v59
	v_add_f32_e32 v63, v66, v63
	v_add_f32_e32 v66, v110, v253
	;; [unrolled: 1-line block ×3, first 2 shown]
	v_mul_f32_e32 v161, 0x3dbcf732, v42
	v_add_f32_e32 v63, v66, v63
	v_add_f32_e32 v66, v114, v141
	v_sub_f32_e32 v58, v153, v58
	v_add_f32_e32 v7, v7, v5
	v_add_f32_e32 v6, v16, v6
	v_mul_f32_e32 v169, 0xbf1a4643, v44
	v_add_f32_e32 v66, v66, v63
	v_add_f32_e32 v58, v58, v4
	v_sub_f32_e32 v63, v161, v65
	v_add_f32_e32 v7, v17, v7
	v_add_f32_e32 v6, v18, v6
	v_mul_f32_e32 v177, 0xbf7ba420, v46
	v_add_f32_e32 v58, v63, v58
	v_sub_f32_e32 v63, v169, v71
	v_add_f32_e32 v7, v19, v7
	v_add_f32_e32 v6, v20, v6
	v_mul_f32_e32 v185, 0xbf59a7d5, v48
	;; [unrolled: 5-line block ×5, first 2 shown]
	v_mul_f32_e32 v166, 0x3f6eb680, v56
	v_add_f32_e32 v58, v63, v58
	v_sub_f32_e32 v63, v252, v106
	v_add_f32_e32 v7, v27, v7
	v_add_f32_e32 v6, v8, v6
	v_mul_f32_e32 v160, 0x3f3d2fb0, v43
	v_add_f32_e32 v58, v63, v58
	v_sub_f32_e32 v63, v166, v111
	v_add_f32_e32 v55, v55, v152
	v_add_f32_e32 v7, v9, v7
	;; [unrolled: 1-line block ×3, first 2 shown]
	v_mul_f32_e32 v168, 0x3ee437d1, v45
	v_add_f32_e32 v65, v63, v58
	v_add_f32_e32 v55, v55, v5
	;; [unrolled: 1-line block ×5, first 2 shown]
	v_fma_f32 v8, v41, s17, -v201
	v_fma_f32 v10, v41, s19, -v217
	;; [unrolled: 1-line block ×3, first 2 shown]
	v_mul_f32_e32 v176, 0x3dbcf732, v47
	v_add_f32_e32 v55, v58, v55
	v_add_f32_e32 v58, v67, v168
	;; [unrolled: 1-line block ×4, first 2 shown]
	v_fma_f32 v9, v43, s6, -v202
	v_add_f32_e32 v10, v10, v5
	v_fma_f32 v11, v43, s10, -v218
	v_add_f32_e32 v12, v12, v5
	v_fma_f32 v13, v43, s18, -v234
	v_mul_f32_e32 v184, 0xbe8c1d8e, v49
	v_add_f32_e32 v55, v58, v55
	v_add_f32_e32 v58, v73, v176
	;; [unrolled: 1-line block ×3, first 2 shown]
	v_fma_f32 v9, v45, s19, -v203
	v_add_f32_e32 v10, v11, v10
	v_fma_f32 v11, v45, s11, -v219
	v_add_f32_e32 v12, v13, v12
	v_fma_f32 v13, v45, s6, -v235
	v_mul_f32_e32 v192, 0xbf1a4643, v51
	v_add_f32_e32 v55, v58, v55
	v_add_f32_e32 v58, v79, v184
	;; [unrolled: 1-line block ×3, first 2 shown]
	v_fma_f32 v9, v47, s7, -v204
	v_add_f32_e32 v10, v11, v10
	v_fma_f32 v11, v47, s16, -v220
	v_add_f32_e32 v12, v13, v12
	v_fma_f32 v13, v47, s19, -v236
	v_mul_f32_e32 v200, 0xbf59a7d5, v54
	v_mul_f32_e32 v139, 0xbf1a4643, v54
	v_add_f32_e32 v55, v58, v55
	v_add_f32_e32 v58, v86, v192
	;; [unrolled: 1-line block ×3, first 2 shown]
	v_fma_f32 v9, v49, s16, -v205
	v_add_f32_e32 v10, v11, v10
	v_fma_f32 v11, v49, s6, -v221
	v_add_f32_e32 v12, v13, v12
	v_fma_f32 v13, v49, s11, -v237
	v_mul_f32_e32 v151, 0x3f6eb680, v40
	v_mul_f32_e32 v140, 0xbf7ba420, v59
	v_add_f32_e32 v90, v91, v90
	v_add_f32_e32 v91, v143, v139
	v_mul_f32_e32 v139, 0x3f3d2fb0, v59
	v_add_f32_e32 v55, v58, v55
	v_add_f32_e32 v58, v100, v200
	;; [unrolled: 1-line block ×4, first 2 shown]
	v_fma_f32 v9, v51, s10, -v206
	v_add_f32_e32 v10, v11, v10
	v_fma_f32 v11, v51, s17, -v222
	v_add_f32_e32 v12, v13, v12
	v_fma_f32 v13, v51, s7, -v238
	v_fma_f32 v14, v41, s18, -v249
	v_mul_f32_e32 v157, 0x3dbcf732, v40
	v_mul_f32_e32 v159, 0x3f3d2fb0, v42
	v_add_f32_e32 v90, v91, v90
	v_add_f32_e32 v91, v144, v139
	;; [unrolled: 1-line block ×4, first 2 shown]
	v_sub_f32_e32 v53, v151, v53
	v_add_f32_e32 v8, v9, v8
	v_fma_f32 v9, v54, s18, -v207
	v_add_f32_e32 v10, v11, v10
	v_fma_f32 v11, v54, s7, -v223
	;; [unrolled: 2-line block ×4, first 2 shown]
	v_mul_f32_e32 v165, 0xbf7ba420, v42
	v_mul_f32_e32 v167, 0x3ee437d1, v44
	v_add_f32_e32 v91, v91, v90
	v_sub_f32_e32 v90, v157, v128
	v_add_f32_e32 v58, v58, v55
	v_add_f32_e32 v53, v53, v4
	v_sub_f32_e32 v55, v159, v57
	v_add_f32_e32 v8, v9, v8
	v_fma_f32 v9, v59, s11, -v208
	v_fmac_f32_e32 v209, 0xbf7ba420, v40
	v_add_f32_e32 v10, v11, v10
	v_fma_f32 v11, v59, s18, -v224
	v_fmac_f32_e32 v225, 0xbf59a7d5, v40
	;; [unrolled: 3-line block ×4, first 2 shown]
	v_mul_f32_e32 v173, 0xbe8c1d8e, v44
	v_mul_f32_e32 v175, 0x3dbcf732, v46
	v_add_f32_e32 v90, v90, v4
	v_sub_f32_e32 v128, v165, v129
	v_add_f32_e32 v53, v55, v53
	v_sub_f32_e32 v55, v167, v64
	v_add_f32_e32 v9, v9, v8
	v_add_f32_e32 v8, v209, v4
	v_fmac_f32_e32 v210, 0x3f6eb680, v42
	v_add_f32_e32 v11, v11, v10
	v_add_f32_e32 v10, v225, v4
	v_fmac_f32_e32 v226, 0x3ee437d1, v42
	;; [unrolled: 3-line block ×3, first 2 shown]
	v_add_f32_e32 v5, v14, v5
	v_fma_f32 v14, v47, s10, -v112
	v_add_f32_e32 v4, v80, v4
	v_fmac_f32_e32 v251, 0xbf59a7d5, v42
	v_mul_f32_e32 v181, 0x3f6eb680, v46
	v_mul_f32_e32 v183, 0xbe8c1d8e, v48
	v_add_f32_e32 v90, v128, v90
	v_sub_f32_e32 v128, v173, v130
	v_add_f32_e32 v53, v55, v53
	v_sub_f32_e32 v55, v175, v69
	v_add_f32_e32 v7, v15, v7
	v_add_f32_e32 v8, v210, v8
	v_fmac_f32_e32 v211, 0xbf59a7d5, v44
	v_add_f32_e32 v10, v226, v10
	v_fmac_f32_e32 v227, 0x3dbcf732, v44
	v_add_f32_e32 v12, v242, v12
	v_fmac_f32_e32 v243, 0x3f6eb680, v44
	v_add_f32_e32 v5, v14, v5
	v_fma_f32 v14, v49, s17, -v115
	v_add_f32_e32 v4, v251, v4
	v_fmac_f32_e32 v103, 0x3f3d2fb0, v44
	v_mul_f32_e32 v189, 0x3ee437d1, v48
	v_mul_f32_e32 v191, 0xbf1a4643, v50
	v_add_f32_e32 v90, v128, v90
	v_sub_f32_e32 v128, v181, v131
	v_add_f32_e32 v53, v55, v53
	v_sub_f32_e32 v55, v183, v75
	v_add_f32_e32 v7, v29, v7
	v_add_f32_e32 v6, v28, v6
	v_add_f32_e32 v8, v211, v8
	v_fmac_f32_e32 v212, 0x3f3d2fb0, v46
	v_add_f32_e32 v10, v227, v10
	v_fmac_f32_e32 v228, 0xbf1a4643, v46
	v_add_f32_e32 v12, v243, v12
	v_fmac_f32_e32 v244, 0xbf59a7d5, v46
	v_add_f32_e32 v5, v14, v5
	v_fma_f32 v14, v51, s11, -v122
	v_add_f32_e32 v4, v103, v4
	v_fmac_f32_e32 v109, 0x3ee437d1, v46
	v_mul_f32_e32 v197, 0xbf59a7d5, v50
	v_mul_f32_e32 v199, 0xbf59a7d5, v52
	v_add_f32_e32 v90, v128, v90
	v_sub_f32_e32 v128, v189, v133
	v_add_f32_e32 v53, v55, v53
	v_sub_f32_e32 v55, v191, v82
	v_add_f32_e32 v7, v31, v7
	;; [unrolled: 18-line block ×3, first 2 shown]
	v_add_f32_e32 v6, v32, v6
	v_add_f32_e32 v8, v213, v8
	v_fmac_f32_e32 v214, 0x3ee437d1, v50
	v_add_f32_e32 v10, v229, v10
	v_fmac_f32_e32 v230, 0xbf7ba420, v50
	;; [unrolled: 2-line block ×3, first 2 shown]
	v_add_f32_e32 v5, v14, v5
	v_fma_f32 v14, v59, s16, -v132
	v_add_f32_e32 v4, v113, v4
	v_fmac_f32_e32 v116, 0x3dbcf732, v50
	v_mul_f32_e32 v182, 0x3f3d2fb0, v56
	v_add_f32_e32 v90, v128, v90
	v_sub_f32_e32 v128, v138, v135
	v_add_f32_e32 v53, v55, v53
	v_sub_f32_e32 v55, v158, v105
	v_add_f32_e32 v7, v35, v7
	v_add_f32_e32 v6, v34, v6
	;; [unrolled: 1-line block ×3, first 2 shown]
	v_fmac_f32_e32 v215, 0xbe8c1d8e, v52
	v_add_f32_e32 v10, v230, v10
	v_fmac_f32_e32 v231, 0x3f3d2fb0, v52
	v_add_f32_e32 v12, v246, v12
	;; [unrolled: 2-line block ×3, first 2 shown]
	v_add_f32_e32 v4, v116, v4
	v_fmac_f32_e32 v124, 0x3f6eb680, v52
	v_mul_lo_u16_e32 v14, 17, v98
	v_add_f32_e32 v90, v128, v90
	v_sub_f32_e32 v128, v182, v136
	v_add_f32_e32 v57, v55, v53
	v_add_f32_e32 v7, v37, v7
	;; [unrolled: 1-line block ×4, first 2 shown]
	v_fmac_f32_e32 v216, 0x3dbcf732, v56
	v_add_f32_e32 v10, v231, v10
	v_fmac_f32_e32 v232, 0xbe8c1d8e, v56
	v_add_f32_e32 v12, v247, v12
	;; [unrolled: 2-line block ×3, first 2 shown]
	v_fmac_f32_e32 v127, 0xbf1a4643, v56
	v_add_lshl_u32 v14, v97, v14, 3
	v_add_f32_e32 v90, v128, v90
	v_add_f32_e32 v8, v216, v8
	;; [unrolled: 1-line block ×5, first 2 shown]
	ds_write2_b64 v14, v[6:7], v[57:58] offset1:1
	ds_write2_b64 v14, v[65:66], v[101:102] offset0:2 offset1:3
	ds_write2_b64 v14, v[90:91], v[149:150] offset0:4 offset1:5
	;; [unrolled: 1-line block ×7, first 2 shown]
	ds_write_b64 v14, v[88:89] offset:128
.LBB0_7:
	s_or_b64 exec, exec, s[4:5]
	s_load_dwordx4 s[4:7], s[2:3], 0x0
	s_movk_i32 s2, 0xf1
	v_mul_lo_u16_sdwa v4, v98, s2 dst_sel:DWORD dst_unused:UNUSED_PAD src0_sel:BYTE_0 src1_sel:DWORD
	v_lshrrev_b16_e32 v4, 12, v4
	v_mul_lo_u16_e32 v5, 17, v4
	v_sub_u16_e32 v5, v98, v5
	v_mov_b32_e32 v6, 12
	v_mul_u32_u24_sdwa v6, v5, v6 dst_sel:DWORD dst_unused:UNUSED_PAD src0_sel:BYTE_0 src1_sel:DWORD
	v_lshlrev_b32_e32 v6, 3, v6
	s_waitcnt lgkmcnt(0)
	s_barrier
	global_load_dwordx4 v[28:31], v6, s[8:9]
	global_load_dwordx4 v[20:23], v6, s[8:9] offset:16
	global_load_dwordx4 v[16:19], v6, s[8:9] offset:32
	;; [unrolled: 1-line block ×5, first 2 shown]
	v_add_lshl_u32 v100, v97, v98, 3
	ds_read2_b64 v[36:39], v100 offset1:85
	ds_read2_b64 v[40:43], v100 offset0:170 offset1:255
	v_add_u32_e32 v11, 0x800, v100
	v_add_u32_e32 v8, 0xc00, v100
	;; [unrolled: 1-line block ×4, first 2 shown]
	ds_read_b64 v[9:10], v100 offset:8160
	ds_read2_b64 v[44:47], v11 offset0:84 offset1:169
	ds_read2_b64 v[48:51], v8 offset0:126 offset1:211
	;; [unrolled: 1-line block ×4, first 2 shown]
	s_mov_b32 s10, 0x3f62ad3f
	s_mov_b32 s3, 0x3f116cb1
	s_mov_b32 s2, 0x3df6dbef
	s_mov_b32 s11, 0xbeb58ec6
	s_mov_b32 s16, 0xbf3f9e67
	s_mov_b32 s17, 0xbf788fa5
	v_mul_u32_u24_e32 v4, 0xdd, v4
	v_add_u32_sdwa v4, v4, v5 dst_sel:DWORD dst_unused:UNUSED_PAD src0_sel:DWORD src1_sel:BYTE_0
	v_add_lshl_u32 v101, v97, v4, 3
	v_add_u32_e32 v4, 0x400, v100
	s_waitcnt vmcnt(0) lgkmcnt(0)
	s_barrier
	v_mul_f32_e32 v11, v39, v29
	v_mul_f32_e32 v60, v38, v29
	;; [unrolled: 1-line block ×8, first 2 shown]
	v_fma_f32 v11, v38, v28, -v11
	v_fmac_f32_e32 v60, v39, v28
	v_mul_f32_e32 v66, v42, v21
	v_mul_f32_e32 v72, v48, v19
	v_fma_f32 v38, v40, v30, -v63
	v_fmac_f32_e32 v64, v41, v30
	v_fma_f32 v39, v42, v20, -v65
	v_fma_f32 v42, v48, v18, -v71
	;; [unrolled: 1-line block ×3, first 2 shown]
	v_fmac_f32_e32 v84, v10, v26
	v_add_f32_e32 v9, v36, v11
	v_add_f32_e32 v10, v37, v60
	v_mul_f32_e32 v67, v45, v23
	v_mul_f32_e32 v68, v44, v23
	v_fmac_f32_e32 v66, v43, v20
	v_add_f32_e32 v9, v9, v38
	v_add_f32_e32 v10, v10, v64
	v_mul_f32_e32 v69, v47, v17
	v_mul_f32_e32 v70, v46, v17
	v_fma_f32 v40, v44, v22, -v67
	v_fmac_f32_e32 v68, v45, v22
	v_add_f32_e32 v9, v9, v39
	v_add_f32_e32 v10, v10, v66
	v_fma_f32 v41, v46, v16, -v69
	v_fmac_f32_e32 v70, v47, v16
	v_add_f32_e32 v9, v9, v40
	v_add_f32_e32 v10, v10, v68
	v_mul_f32_e32 v73, v51, v13
	v_mul_f32_e32 v74, v50, v13
	v_fmac_f32_e32 v72, v49, v18
	v_add_f32_e32 v9, v9, v41
	v_add_f32_e32 v10, v10, v70
	v_mul_f32_e32 v75, v53, v15
	v_mul_f32_e32 v76, v52, v15
	v_fma_f32 v43, v50, v12, -v73
	v_fmac_f32_e32 v74, v51, v12
	v_add_f32_e32 v9, v9, v42
	v_add_f32_e32 v10, v10, v72
	v_mul_f32_e32 v77, v55, v33
	v_mul_f32_e32 v78, v54, v33
	v_fma_f32 v44, v52, v14, -v75
	;; [unrolled: 6-line block ×4, first 2 shown]
	v_fmac_f32_e32 v80, v57, v34
	v_add_f32_e32 v9, v9, v45
	v_add_f32_e32 v10, v10, v78
	v_fma_f32 v47, v58, v24, -v81
	v_fmac_f32_e32 v82, v59, v24
	v_add_f32_e32 v9, v9, v46
	v_add_f32_e32 v10, v10, v80
	;; [unrolled: 1-line block ×3, first 2 shown]
	v_sub_f32_e32 v11, v11, v48
	v_add_f32_e32 v9, v9, v47
	v_add_f32_e32 v10, v10, v82
	v_mul_f32_e32 v53, 0xbeedf032, v11
	v_mul_f32_e32 v57, 0xbf52af12, v11
	;; [unrolled: 1-line block ×6, first 2 shown]
	v_add_f32_e32 v9, v9, v48
	v_add_f32_e32 v10, v10, v84
	;; [unrolled: 1-line block ×3, first 2 shown]
	v_sub_f32_e32 v48, v60, v84
	v_mov_b32_e32 v54, v53
	v_mov_b32_e32 v58, v57
	v_mov_b32_e32 v65, v63
	v_mov_b32_e32 v73, v71
	v_mov_b32_e32 v81, v79
	v_mov_b32_e32 v84, v11
	v_fmac_f32_e32 v54, 0x3f62ad3f, v50
	v_fma_f32 v53, v50, s10, -v53
	v_fmac_f32_e32 v58, 0x3f116cb1, v50
	v_fma_f32 v57, v50, s3, -v57
	;; [unrolled: 2-line block ×6, first 2 shown]
	v_mul_f32_e32 v51, 0xbeedf032, v48
	v_add_f32_e32 v54, v37, v54
	v_add_f32_e32 v53, v37, v53
	v_mul_f32_e32 v55, 0xbf52af12, v48
	v_add_f32_e32 v58, v37, v58
	v_add_f32_e32 v57, v37, v57
	;; [unrolled: 3-line block ×6, first 2 shown]
	v_add_f32_e32 v37, v38, v47
	v_sub_f32_e32 v38, v38, v47
	v_sub_f32_e32 v47, v64, v82
	v_fma_f32 v52, v49, s10, -v51
	v_fmac_f32_e32 v51, 0x3f62ad3f, v49
	v_fma_f32 v56, v49, s3, -v55
	v_fmac_f32_e32 v55, 0x3f116cb1, v49
	;; [unrolled: 2-line block ×6, first 2 shown]
	v_mul_f32_e32 v49, 0xbf52af12, v47
	v_add_f32_e32 v52, v36, v52
	v_fma_f32 v50, v37, s3, -v49
	v_add_f32_e32 v51, v36, v51
	v_add_f32_e32 v56, v36, v56
	;; [unrolled: 1-line block ×13, first 2 shown]
	v_mul_f32_e32 v52, 0xbf52af12, v38
	v_fmac_f32_e32 v49, 0x3f116cb1, v37
	v_mov_b32_e32 v64, v52
	v_add_f32_e32 v49, v49, v51
	v_fma_f32 v51, v48, s3, -v52
	v_mul_f32_e32 v52, 0xbf6f5d39, v47
	v_add_f32_e32 v51, v51, v53
	v_fma_f32 v53, v37, s11, -v52
	v_fmac_f32_e32 v64, 0x3f116cb1, v48
	v_add_f32_e32 v53, v53, v56
	v_mul_f32_e32 v56, 0xbf6f5d39, v38
	v_fmac_f32_e32 v52, 0xbeb58ec6, v37
	v_add_f32_e32 v54, v64, v54
	v_mov_b32_e32 v64, v56
	v_add_f32_e32 v52, v52, v55
	v_fma_f32 v55, v48, s11, -v56
	v_mul_f32_e32 v56, 0xbe750f2a, v47
	v_add_f32_e32 v55, v55, v57
	v_fma_f32 v57, v37, s17, -v56
	v_fmac_f32_e32 v64, 0xbeb58ec6, v48
	v_add_f32_e32 v57, v57, v60
	v_mul_f32_e32 v60, 0xbe750f2a, v38
	v_add_f32_e32 v58, v64, v58
	v_mov_b32_e32 v64, v60
	v_fmac_f32_e32 v56, 0xbf788fa5, v37
	v_fmac_f32_e32 v64, 0xbf788fa5, v48
	v_add_f32_e32 v56, v56, v59
	v_fma_f32 v59, v48, s17, -v60
	v_mul_f32_e32 v60, 0x3f29c268, v47
	v_add_f32_e32 v64, v64, v65
	v_add_f32_e32 v59, v59, v63
	v_fma_f32 v63, v37, s16, -v60
	v_mul_f32_e32 v65, 0x3f29c268, v38
	v_add_f32_e32 v63, v63, v69
	v_mov_b32_e32 v69, v65
	v_fmac_f32_e32 v60, 0xbf3f9e67, v37
	v_fmac_f32_e32 v69, 0xbf3f9e67, v48
	v_add_f32_e32 v60, v60, v67
	v_fma_f32 v65, v48, s16, -v65
	v_mul_f32_e32 v67, 0x3f7e222b, v47
	v_add_f32_e32 v69, v69, v73
	v_add_f32_e32 v65, v65, v71
	v_fma_f32 v71, v37, s2, -v67
	v_mul_f32_e32 v73, 0x3f7e222b, v38
	v_fmac_f32_e32 v67, 0x3df6dbef, v37
	v_mul_f32_e32 v47, 0x3eedf032, v47
	v_mul_f32_e32 v38, 0x3eedf032, v38
	v_add_f32_e32 v67, v67, v75
	v_fma_f32 v75, v37, s10, -v47
	v_fmac_f32_e32 v47, 0x3f62ad3f, v37
	v_fma_f32 v37, v48, s10, -v38
	v_add_f32_e32 v71, v71, v77
	v_mov_b32_e32 v77, v73
	v_fma_f32 v73, v48, s2, -v73
	v_add_f32_e32 v11, v37, v11
	v_add_f32_e32 v37, v39, v46
	v_sub_f32_e32 v39, v39, v46
	v_sub_f32_e32 v46, v66, v80
	v_add_f32_e32 v73, v73, v79
	v_mov_b32_e32 v79, v38
	v_add_f32_e32 v36, v47, v36
	v_mul_f32_e32 v47, 0xbf7e222b, v46
	v_fmac_f32_e32 v77, 0x3df6dbef, v48
	v_fmac_f32_e32 v79, 0x3f62ad3f, v48
	v_fma_f32 v48, v37, s2, -v47
	v_add_f32_e32 v38, v66, v80
	v_add_f32_e32 v48, v48, v50
	v_mul_f32_e32 v50, 0xbf7e222b, v39
	v_fmac_f32_e32 v47, 0x3df6dbef, v37
	v_mov_b32_e32 v66, v50
	v_add_f32_e32 v47, v47, v49
	v_fma_f32 v49, v38, s2, -v50
	v_mul_f32_e32 v50, 0xbe750f2a, v46
	v_add_f32_e32 v49, v49, v51
	v_fma_f32 v51, v37, s17, -v50
	v_fmac_f32_e32 v66, 0x3df6dbef, v38
	v_add_f32_e32 v51, v51, v53
	v_mul_f32_e32 v53, 0xbe750f2a, v39
	v_fmac_f32_e32 v50, 0xbf788fa5, v37
	v_add_f32_e32 v54, v66, v54
	v_mov_b32_e32 v66, v53
	v_add_f32_e32 v50, v50, v52
	v_fma_f32 v52, v38, s17, -v53
	v_mul_f32_e32 v53, 0x3f6f5d39, v46
	v_add_f32_e32 v52, v52, v55
	v_fma_f32 v55, v37, s11, -v53
	v_fmac_f32_e32 v66, 0xbf788fa5, v38
	v_add_f32_e32 v55, v55, v57
	v_mul_f32_e32 v57, 0x3f6f5d39, v39
	v_fmac_f32_e32 v53, 0xbeb58ec6, v37
	v_add_f32_e32 v58, v66, v58
	v_mov_b32_e32 v66, v57
	v_add_f32_e32 v53, v53, v56
	v_fma_f32 v56, v38, s11, -v57
	v_mul_f32_e32 v57, 0x3eedf032, v46
	v_add_f32_e32 v56, v56, v59
	v_fma_f32 v59, v37, s10, -v57
	v_fmac_f32_e32 v66, 0xbeb58ec6, v38
	v_add_f32_e32 v59, v59, v63
	v_mul_f32_e32 v63, 0x3eedf032, v39
	v_add_f32_e32 v64, v66, v64
	v_mov_b32_e32 v66, v63
	v_fmac_f32_e32 v57, 0x3f62ad3f, v37
	v_fmac_f32_e32 v66, 0x3f62ad3f, v38
	v_add_f32_e32 v57, v57, v60
	v_fma_f32 v60, v38, s10, -v63
	v_mul_f32_e32 v63, 0xbf52af12, v46
	v_add_f32_e32 v66, v66, v69
	v_add_f32_e32 v60, v60, v65
	v_fma_f32 v65, v37, s3, -v63
	v_mul_f32_e32 v69, 0xbf52af12, v39
	v_fmac_f32_e32 v63, 0x3f116cb1, v37
	v_mul_f32_e32 v46, 0xbf29c268, v46
	v_mul_f32_e32 v39, 0xbf29c268, v39
	v_add_f32_e32 v65, v65, v71
	v_mov_b32_e32 v71, v69
	v_add_f32_e32 v63, v63, v67
	v_fma_f32 v67, v38, s3, -v69
	v_fma_f32 v69, v37, s16, -v46
	v_fmac_f32_e32 v46, 0xbf3f9e67, v37
	v_fma_f32 v37, v38, s16, -v39
	v_add_f32_e32 v67, v67, v73
	v_mov_b32_e32 v73, v39
	v_add_f32_e32 v11, v37, v11
	v_add_f32_e32 v37, v40, v45
	v_sub_f32_e32 v39, v40, v45
	v_sub_f32_e32 v40, v68, v78
	v_mul_f32_e32 v45, 0xbf6f5d39, v40
	v_add_f32_e32 v36, v46, v36
	v_fma_f32 v46, v37, s11, -v45
	v_fmac_f32_e32 v71, 0x3f116cb1, v38
	v_fmac_f32_e32 v73, 0xbf3f9e67, v38
	v_add_f32_e32 v38, v68, v78
	v_add_f32_e32 v46, v46, v48
	v_mul_f32_e32 v48, 0xbf6f5d39, v39
	v_fmac_f32_e32 v45, 0xbeb58ec6, v37
	v_mov_b32_e32 v68, v48
	v_add_f32_e32 v45, v45, v47
	v_fma_f32 v47, v38, s11, -v48
	v_mul_f32_e32 v48, 0x3f29c268, v40
	v_add_f32_e32 v47, v47, v49
	v_fma_f32 v49, v37, s16, -v48
	v_fmac_f32_e32 v68, 0xbeb58ec6, v38
	v_add_f32_e32 v49, v49, v51
	v_mul_f32_e32 v51, 0x3f29c268, v39
	v_fmac_f32_e32 v48, 0xbf3f9e67, v37
	v_add_f32_e32 v54, v68, v54
	v_mov_b32_e32 v68, v51
	v_add_f32_e32 v48, v48, v50
	v_fma_f32 v50, v38, s16, -v51
	v_mul_f32_e32 v51, 0x3eedf032, v40
	v_add_f32_e32 v50, v50, v52
	v_fma_f32 v52, v37, s10, -v51
	v_fmac_f32_e32 v68, 0xbf3f9e67, v38
	v_add_f32_e32 v52, v52, v55
	v_mul_f32_e32 v55, 0x3eedf032, v39
	v_fmac_f32_e32 v51, 0x3f62ad3f, v37
	v_add_f32_e32 v58, v68, v58
	;; [unrolled: 11-line block ×3, first 2 shown]
	v_mov_b32_e32 v68, v59
	v_add_f32_e32 v55, v55, v57
	v_fma_f32 v57, v38, s2, -v59
	v_mul_f32_e32 v59, 0x3e750f2a, v40
	v_add_f32_e32 v57, v57, v60
	v_fma_f32 v60, v37, s17, -v59
	v_fmac_f32_e32 v68, 0x3df6dbef, v38
	v_add_f32_e32 v60, v60, v65
	v_mul_f32_e32 v65, 0x3e750f2a, v39
	v_fmac_f32_e32 v59, 0xbf788fa5, v37
	v_mul_f32_e32 v40, 0x3f52af12, v40
	v_add_f32_e32 v66, v68, v66
	v_mov_b32_e32 v68, v65
	v_add_f32_e32 v59, v59, v63
	v_fma_f32 v63, v38, s17, -v65
	v_fma_f32 v65, v37, s3, -v40
	v_mul_f32_e32 v39, 0x3f52af12, v39
	v_fmac_f32_e32 v40, 0x3f116cb1, v37
	v_add_f32_e32 v36, v40, v36
	v_fma_f32 v37, v38, s3, -v39
	v_sub_f32_e32 v40, v70, v76
	v_add_f32_e32 v63, v63, v67
	v_mov_b32_e32 v67, v39
	v_add_f32_e32 v11, v37, v11
	v_add_f32_e32 v37, v41, v44
	v_sub_f32_e32 v39, v41, v44
	v_mul_f32_e32 v41, 0xbf29c268, v40
	v_add_f32_e32 v75, v75, v83
	v_fma_f32 v44, v37, s16, -v41
	v_add_f32_e32 v69, v69, v75
	v_fmac_f32_e32 v68, 0xbf788fa5, v38
	v_fmac_f32_e32 v67, 0x3f116cb1, v38
	v_add_f32_e32 v38, v70, v76
	v_add_f32_e32 v44, v44, v46
	v_mul_f32_e32 v46, 0xbf29c268, v39
	v_fmac_f32_e32 v41, 0xbf3f9e67, v37
	v_add_f32_e32 v65, v65, v69
	v_mov_b32_e32 v69, v46
	v_add_f32_e32 v41, v41, v45
	v_fma_f32 v45, v38, s16, -v46
	v_mul_f32_e32 v46, 0x3f7e222b, v40
	v_add_f32_e32 v45, v45, v47
	v_fma_f32 v47, v37, s2, -v46
	v_fmac_f32_e32 v69, 0xbf3f9e67, v38
	v_add_f32_e32 v47, v47, v49
	v_mul_f32_e32 v49, 0x3f7e222b, v39
	v_fmac_f32_e32 v46, 0x3df6dbef, v37
	v_add_f32_e32 v54, v69, v54
	v_mov_b32_e32 v69, v49
	v_add_f32_e32 v46, v46, v48
	v_fma_f32 v48, v38, s2, -v49
	v_mul_f32_e32 v49, 0xbf52af12, v40
	v_add_f32_e32 v48, v48, v50
	v_fma_f32 v50, v37, s3, -v49
	v_fmac_f32_e32 v69, 0x3df6dbef, v38
	;; [unrolled: 11-line block ×3, first 2 shown]
	v_add_f32_e32 v56, v53, v56
	v_mul_f32_e32 v53, 0x3e750f2a, v39
	v_add_f32_e32 v64, v69, v64
	v_mov_b32_e32 v69, v53
	v_fmac_f32_e32 v69, 0xbf788fa5, v38
	v_fmac_f32_e32 v52, 0xbf788fa5, v37
	v_add_f32_e32 v66, v69, v66
	v_add_f32_e32 v69, v52, v55
	v_fma_f32 v52, v38, s17, -v53
	v_add_f32_e32 v57, v52, v57
	v_mul_f32_e32 v52, 0x3eedf032, v40
	v_add_f32_e32 v77, v77, v81
	v_fma_f32 v53, v37, s10, -v52
	v_add_f32_e32 v71, v71, v77
	v_add_f32_e32 v70, v53, v60
	v_mul_f32_e32 v53, 0x3eedf032, v39
	v_fmac_f32_e32 v52, 0x3f62ad3f, v37
	v_add_f32_e32 v68, v68, v71
	v_add_f32_e32 v71, v52, v59
	v_fma_f32 v52, v38, s10, -v53
	v_mul_f32_e32 v40, 0xbf6f5d39, v40
	v_add_f32_e32 v79, v79, v84
	v_add_f32_e32 v63, v52, v63
	v_fma_f32 v52, v37, s11, -v40
	v_mul_f32_e32 v39, 0xbf6f5d39, v39
	v_add_f32_e32 v73, v73, v79
	v_mov_b32_e32 v55, v53
	v_add_f32_e32 v65, v52, v65
	v_mov_b32_e32 v52, v39
	v_fmac_f32_e32 v40, 0xbeb58ec6, v37
	v_add_f32_e32 v76, v72, v74
	v_sub_f32_e32 v72, v72, v74
	v_add_f32_e32 v67, v67, v73
	v_fmac_f32_e32 v55, 0x3f62ad3f, v38
	v_fmac_f32_e32 v52, 0xbeb58ec6, v38
	v_add_f32_e32 v73, v40, v36
	v_fma_f32 v36, v38, s11, -v39
	v_add_f32_e32 v75, v42, v43
	v_sub_f32_e32 v77, v42, v43
	v_mul_f32_e32 v38, 0xbe750f2a, v72
	v_add_f32_e32 v11, v36, v11
	v_fma_f32 v36, v75, s17, -v38
	v_mul_f32_e32 v39, 0xbe750f2a, v77
	v_fmac_f32_e32 v38, 0xbf788fa5, v75
	v_mov_b32_e32 v37, v39
	v_add_f32_e32 v59, v38, v41
	v_fma_f32 v38, v76, s17, -v39
	v_mul_f32_e32 v40, 0x3eedf032, v72
	v_fmac_f32_e32 v37, 0xbf788fa5, v76
	v_add_f32_e32 v60, v38, v45
	v_fma_f32 v38, v75, s10, -v40
	v_mul_f32_e32 v41, 0x3eedf032, v77
	v_fmac_f32_e32 v40, 0x3f62ad3f, v75
	v_add_f32_e32 v37, v37, v54
	v_add_f32_e32 v54, v40, v46
	v_fma_f32 v40, v76, s10, -v41
	v_mul_f32_e32 v42, 0xbf29c268, v72
	v_add_f32_e32 v68, v55, v68
	v_add_f32_e32 v55, v40, v48
	v_fma_f32 v40, v75, s16, -v42
	v_mul_f32_e32 v43, 0xbf29c268, v77
	v_fmac_f32_e32 v42, 0xbf3f9e67, v75
	v_mul_f32_e32 v45, 0x3f52af12, v77
	v_add_f32_e32 v67, v52, v67
	v_add_f32_e32 v36, v36, v44
	v_mov_b32_e32 v39, v41
	v_mov_b32_e32 v41, v43
	v_add_f32_e32 v52, v42, v49
	v_fma_f32 v42, v76, s16, -v43
	v_mul_f32_e32 v44, 0x3f52af12, v72
	v_mov_b32_e32 v43, v45
	v_fma_f32 v45, v76, s3, -v45
	v_add_f32_e32 v53, v42, v51
	v_fma_f32 v42, v75, s3, -v44
	v_add_f32_e32 v45, v45, v57
	v_mul_f32_e32 v49, 0xbf6f5d39, v77
	v_mul_f32_e32 v57, 0x3f7e222b, v77
	v_add_f32_e32 v38, v38, v47
	v_add_f32_e32 v42, v42, v56
	v_mul_f32_e32 v48, 0xbf6f5d39, v72
	v_mov_b32_e32 v47, v49
	v_mul_f32_e32 v56, 0x3f7e222b, v72
	v_mov_b32_e32 v51, v57
	v_fmac_f32_e32 v39, 0x3f62ad3f, v76
	v_add_f32_e32 v40, v40, v50
	v_fmac_f32_e32 v41, 0xbf3f9e67, v76
	v_fmac_f32_e32 v43, 0x3f116cb1, v76
	v_fmac_f32_e32 v44, 0x3f116cb1, v75
	v_fma_f32 v46, v75, s11, -v48
	v_fmac_f32_e32 v47, 0xbeb58ec6, v76
	v_fmac_f32_e32 v48, 0xbeb58ec6, v75
	v_fma_f32 v49, v76, s11, -v49
	v_fma_f32 v50, v75, s2, -v56
	v_fmac_f32_e32 v51, 0x3df6dbef, v76
	v_fmac_f32_e32 v56, 0x3df6dbef, v75
	v_fma_f32 v57, v76, s2, -v57
	v_add_f32_e32 v39, v39, v58
	v_add_f32_e32 v41, v41, v64
	;; [unrolled: 1-line block ×12, first 2 shown]
	ds_write2_b64 v101, v[9:10], v[36:37] offset1:17
	ds_write2_b64 v101, v[38:39], v[40:41] offset0:34 offset1:51
	ds_write2_b64 v101, v[42:43], v[46:47] offset0:68 offset1:85
	ds_write2_b64 v101, v[50:51], v[56:57] offset0:102 offset1:119
	ds_write2_b64 v101, v[48:49], v[44:45] offset0:136 offset1:153
	ds_write2_b64 v101, v[52:53], v[54:55] offset0:170 offset1:187
	ds_write_b64 v101, v[59:60] offset:1632
	s_waitcnt lgkmcnt(0)
	s_barrier
	ds_read2_b64 v[63:66], v100 offset1:85
	ds_read2_b64 v[67:70], v4 offset0:93 offset1:178
	ds_read2_b64 v[71:74], v8 offset0:58 offset1:143
	ds_read2_b64 v[75:78], v7 offset0:151 offset1:236
	ds_read2_b64 v[79:82], v6 offset0:116 offset1:201
	v_cmp_gt_u16_e64 s[2:3], 51, v98
	s_and_saveexec_b64 s[10:11], s[2:3]
	s_cbranch_execz .LBB0_9
; %bb.8:
	v_add_u32_e32 v0, 0x500, v100
	ds_read2_b64 v[52:55], v0 offset0:10 offset1:231
	v_add_u32_e32 v0, 0x1300, v100
	ds_read2_b64 v[59:62], v0 offset0:4 offset1:225
	ds_read_b64 v[0:1], v100 offset:8432
.LBB0_9:
	s_or_b64 exec, exec, s[10:11]
	v_lshlrev_b32_e32 v4, 5, v98
	global_load_dwordx4 v[44:47], v4, s[8:9] offset:1632
	global_load_dwordx4 v[36:39], v4, s[8:9] offset:1648
	v_add_u32_e32 v4, 0xaa0, v4
	global_load_dwordx4 v[48:51], v4, s[8:9] offset:1632
	global_load_dwordx4 v[40:43], v4, s[8:9] offset:1648
	v_add_co_u32_e32 v4, vcc, 0xaa, v98
	s_movk_i32 s16, 0xffcd
	v_addc_co_u32_e64 v5, s[10:11], 0, 0, vcc
	v_add_co_u32_e32 v7, vcc, s16, v98
	v_addc_co_u32_e64 v8, s[10:11], 0, -1, vcc
	v_cndmask_b32_e64 v5, v8, v5, s[2:3]
	v_cndmask_b32_e64 v4, v7, v4, s[2:3]
	v_lshlrev_b64 v[4:5], 5, v[4:5]
	v_mov_b32_e32 v6, s9
	v_add_co_u32_e32 v56, vcc, s8, v4
	v_addc_co_u32_e32 v57, vcc, v6, v5, vcc
	global_load_dwordx4 v[8:11], v[56:57], off offset:1632
	global_load_dwordx4 v[4:7], v[56:57], off offset:1648
	s_waitcnt vmcnt(5) lgkmcnt(3)
	v_mul_f32_e32 v56, v68, v45
	s_waitcnt vmcnt(4) lgkmcnt(0)
	v_mul_f32_e32 v90, v79, v39
	v_mul_f32_e32 v84, v71, v47
	;; [unrolled: 1-line block ×4, first 2 shown]
	v_fmac_f32_e32 v90, v80, v38
	s_waitcnt vmcnt(2)
	v_mul_f32_e32 v80, v77, v41
	v_mul_f32_e32 v57, v72, v47
	;; [unrolled: 1-line block ×3, first 2 shown]
	v_fma_f32 v91, v67, v44, -v56
	v_fmac_f32_e32 v84, v72, v46
	v_fma_f32 v72, v75, v36, -v58
	v_fma_f32 v75, v79, v38, -v86
	v_mul_f32_e32 v58, v78, v41
	v_mul_f32_e32 v86, v81, v43
	v_fmac_f32_e32 v80, v78, v40
	v_mul_f32_e32 v83, v67, v45
	v_mul_f32_e32 v79, v73, v51
	;; [unrolled: 1-line block ×3, first 2 shown]
	v_fmac_f32_e32 v86, v82, v42
	v_fma_f32 v71, v71, v46, -v57
	s_waitcnt vmcnt(0)
	v_mul_f32_e32 v78, v1, v7
	v_mul_f32_e32 v102, v61, v5
	;; [unrolled: 1-line block ×3, first 2 shown]
	v_fma_f32 v82, v0, v6, -v78
	v_add_f32_e32 v0, v91, v75
	v_fmac_f32_e32 v85, v76, v36
	v_mul_f32_e32 v56, v70, v49
	v_mul_f32_e32 v57, v74, v51
	v_fmac_f32_e32 v79, v74, v50
	v_fma_f32 v74, v77, v40, -v58
	v_mul_f32_e32 v95, v59, v11
	v_mul_f32_e32 v77, v62, v5
	v_fmac_f32_e32 v102, v62, v4
	v_fma_f32 v62, -0.5, v0, v63
	v_fmac_f32_e32 v83, v68, v44
	v_mul_f32_e32 v76, v69, v49
	v_fma_f32 v92, v69, v48, -v56
	v_fma_f32 v93, v73, v50, -v57
	v_sub_f32_e32 v69, v84, v85
	v_mul_f32_e32 v73, v60, v11
	v_fmac_f32_e32 v95, v60, v10
	v_mov_b32_e32 v60, v62
	v_add_f32_e32 v57, v71, v72
	v_sub_f32_e32 v68, v83, v90
	v_fmac_f32_e32 v103, v1, v6
	v_fmac_f32_e32 v60, 0xbf737871, v69
	v_sub_f32_e32 v0, v71, v91
	v_sub_f32_e32 v1, v72, v75
	v_fmac_f32_e32 v62, 0x3f737871, v69
	v_fmac_f32_e32 v76, v70, v48
	v_fma_f32 v81, v81, v42, -v67
	v_sub_f32_e32 v58, v91, v71
	v_sub_f32_e32 v70, v75, v72
	v_fma_f32 v67, -0.5, v57, v63
	v_fmac_f32_e32 v60, 0x3f167918, v68
	v_add_f32_e32 v0, v0, v1
	v_fmac_f32_e32 v62, 0xbf167918, v68
	v_add_f32_e32 v57, v58, v70
	v_mov_b32_e32 v58, v67
	v_fmac_f32_e32 v60, 0x3e9e377a, v0
	v_fmac_f32_e32 v62, 0x3e9e377a, v0
	v_add_f32_e32 v0, v64, v83
	v_fmac_f32_e32 v58, 0x3f737871, v68
	v_fmac_f32_e32 v67, 0xbf737871, v68
	v_add_f32_e32 v0, v0, v84
	;; [unrolled: 3-line block ×4, first 2 shown]
	v_add_f32_e32 v0, v84, v85
	v_mul_f32_e32 v94, v54, v9
	v_fma_f32 v68, -0.5, v0, v64
	v_mul_f32_e32 v70, v55, v9
	v_fmac_f32_e32 v94, v55, v8
	v_fma_f32 v55, v59, v10, -v73
	v_sub_f32_e32 v0, v91, v75
	v_mov_b32_e32 v59, v68
	v_add_f32_e32 v56, v63, v91
	v_fma_f32 v104, v61, v4, -v77
	v_fmac_f32_e32 v59, 0xbf737871, v0
	v_sub_f32_e32 v1, v71, v72
	v_sub_f32_e32 v61, v83, v84
	v_sub_f32_e32 v63, v90, v85
	v_fmac_f32_e32 v68, 0x3f737871, v0
	v_fmac_f32_e32 v59, 0xbf167918, v1
	v_add_f32_e32 v61, v61, v63
	v_fmac_f32_e32 v68, 0x3f167918, v1
	v_fmac_f32_e32 v59, 0x3e9e377a, v61
	v_fmac_f32_e32 v68, 0x3e9e377a, v61
	v_add_f32_e32 v61, v83, v90
	v_fma_f32 v63, -0.5, v61, v64
	v_mov_b32_e32 v61, v63
	v_fmac_f32_e32 v61, 0x3f737871, v1
	v_fmac_f32_e32 v63, 0xbf737871, v1
	;; [unrolled: 1-line block ×4, first 2 shown]
	v_add_f32_e32 v0, v65, v92
	v_add_f32_e32 v0, v0, v93
	v_sub_f32_e32 v64, v84, v83
	v_sub_f32_e32 v69, v85, v90
	v_add_f32_e32 v0, v0, v74
	v_add_f32_e32 v64, v64, v69
	;; [unrolled: 1-line block ×4, first 2 shown]
	v_fma_f32 v77, -0.5, v0, v65
	v_add_f32_e32 v56, v56, v71
	v_sub_f32_e32 v0, v76, v86
	v_mov_b32_e32 v71, v77
	v_fma_f32 v54, v54, v8, -v70
	v_fmac_f32_e32 v61, 0x3e9e377a, v64
	v_fmac_f32_e32 v63, 0x3e9e377a, v64
	;; [unrolled: 1-line block ×3, first 2 shown]
	v_sub_f32_e32 v1, v79, v80
	v_sub_f32_e32 v64, v92, v93
	;; [unrolled: 1-line block ×3, first 2 shown]
	v_fmac_f32_e32 v77, 0xbf737871, v0
	v_fmac_f32_e32 v71, 0x3f167918, v1
	v_add_f32_e32 v64, v64, v70
	v_fmac_f32_e32 v77, 0xbf167918, v1
	v_fmac_f32_e32 v71, 0x3e9e377a, v64
	;; [unrolled: 1-line block ×3, first 2 shown]
	v_add_f32_e32 v64, v92, v81
	v_fma_f32 v65, -0.5, v64, v65
	v_mov_b32_e32 v73, v65
	v_fmac_f32_e32 v73, 0xbf737871, v1
	v_fmac_f32_e32 v65, 0x3f737871, v1
	;; [unrolled: 1-line block ×4, first 2 shown]
	v_add_f32_e32 v0, v66, v76
	v_add_f32_e32 v0, v0, v79
	v_sub_f32_e32 v64, v93, v92
	v_sub_f32_e32 v70, v74, v81
	v_add_f32_e32 v0, v0, v80
	v_add_f32_e32 v64, v64, v70
	;; [unrolled: 1-line block ×4, first 2 shown]
	v_fma_f32 v78, -0.5, v0, v66
	v_add_f32_e32 v56, v56, v72
	v_sub_f32_e32 v0, v92, v81
	v_mov_b32_e32 v72, v78
	v_fmac_f32_e32 v73, 0x3e9e377a, v64
	v_fmac_f32_e32 v65, 0x3e9e377a, v64
	;; [unrolled: 1-line block ×3, first 2 shown]
	v_sub_f32_e32 v1, v93, v74
	v_sub_f32_e32 v64, v76, v79
	v_sub_f32_e32 v74, v86, v80
	v_fmac_f32_e32 v78, 0x3f737871, v0
	v_fmac_f32_e32 v72, 0xbf167918, v1
	v_add_f32_e32 v64, v64, v74
	v_fmac_f32_e32 v78, 0x3f167918, v1
	v_fmac_f32_e32 v72, 0x3e9e377a, v64
	;; [unrolled: 1-line block ×3, first 2 shown]
	v_add_f32_e32 v64, v76, v86
	v_fmac_f32_e32 v66, -0.5, v64
	v_mov_b32_e32 v74, v66
	v_fmac_f32_e32 v74, 0x3f737871, v1
	v_fmac_f32_e32 v66, 0xbf737871, v1
	;; [unrolled: 1-line block ×4, first 2 shown]
	v_add_f32_e32 v0, v52, v54
	v_add_f32_e32 v0, v0, v55
	;; [unrolled: 1-line block ×3, first 2 shown]
	v_sub_f32_e32 v64, v79, v76
	v_add_f32_e32 v79, v0, v82
	v_add_f32_e32 v0, v55, v104
	;; [unrolled: 1-line block ×3, first 2 shown]
	v_sub_f32_e32 v75, v80, v86
	v_fma_f32 v0, -0.5, v0, v52
	v_add_f32_e32 v64, v64, v75
	v_sub_f32_e32 v1, v94, v103
	v_mov_b32_e32 v81, v0
	v_fmac_f32_e32 v74, 0x3e9e377a, v64
	v_fmac_f32_e32 v66, 0x3e9e377a, v64
	;; [unrolled: 1-line block ×3, first 2 shown]
	v_sub_f32_e32 v64, v95, v102
	v_sub_f32_e32 v75, v54, v55
	;; [unrolled: 1-line block ×3, first 2 shown]
	v_fmac_f32_e32 v0, 0xbf737871, v1
	v_fmac_f32_e32 v81, 0x3f167918, v64
	v_add_f32_e32 v75, v75, v76
	v_fmac_f32_e32 v0, 0xbf167918, v64
	v_fmac_f32_e32 v81, 0x3e9e377a, v75
	;; [unrolled: 1-line block ×3, first 2 shown]
	v_add_f32_e32 v75, v54, v82
	v_fmac_f32_e32 v52, -0.5, v75
	v_mov_b32_e32 v83, v52
	v_fmac_f32_e32 v83, 0xbf737871, v64
	v_fmac_f32_e32 v52, 0x3f737871, v64
	;; [unrolled: 1-line block ×4, first 2 shown]
	v_add_f32_e32 v1, v53, v94
	v_add_f32_e32 v1, v1, v95
	;; [unrolled: 1-line block ×5, first 2 shown]
	v_sub_f32_e32 v75, v55, v54
	v_sub_f32_e32 v76, v104, v82
	v_fma_f32 v1, -0.5, v1, v53
	v_add_f32_e32 v75, v75, v76
	v_sub_f32_e32 v54, v54, v82
	v_mov_b32_e32 v82, v1
	v_fmac_f32_e32 v83, 0x3e9e377a, v75
	v_fmac_f32_e32 v52, 0x3e9e377a, v75
	;; [unrolled: 1-line block ×3, first 2 shown]
	v_sub_f32_e32 v55, v55, v104
	v_sub_f32_e32 v64, v94, v95
	;; [unrolled: 1-line block ×3, first 2 shown]
	v_fmac_f32_e32 v1, 0x3f737871, v54
	v_fmac_f32_e32 v82, 0xbf167918, v55
	v_add_f32_e32 v64, v64, v75
	v_fmac_f32_e32 v1, 0x3f167918, v55
	v_fmac_f32_e32 v82, 0x3e9e377a, v64
	;; [unrolled: 1-line block ×3, first 2 shown]
	v_add_f32_e32 v64, v94, v103
	v_fmac_f32_e32 v53, -0.5, v64
	v_mov_b32_e32 v84, v53
	v_fmac_f32_e32 v84, 0x3f737871, v55
	v_sub_f32_e32 v64, v95, v94
	v_sub_f32_e32 v75, v102, v103
	v_fmac_f32_e32 v53, 0xbf737871, v55
	v_fmac_f32_e32 v84, 0xbf167918, v54
	v_add_f32_e32 v64, v64, v75
	v_fmac_f32_e32 v53, 0x3f167918, v54
	v_fmac_f32_e32 v84, 0x3e9e377a, v64
	v_fmac_f32_e32 v53, 0x3e9e377a, v64
	v_lshl_add_u32 v64, v98, 3, v99
	v_add_u32_e32 v54, 0x600, v64
	ds_write2_b64 v54, v[58:59], v[60:61] offset0:29 offset1:250
	v_add_u32_e32 v54, 0x1400, v64
	v_add_u32_e32 v102, v96, v99
	ds_write2_b64 v54, v[62:63], v[67:68] offset0:23 offset1:244
	v_add_u32_e32 v54, 0x900, v102
	ds_write2_b64 v64, v[56:57], v[69:70] offset1:85
	ds_write2_b64 v54, v[71:72], v[73:74] offset0:18 offset1:239
	v_add_u32_e32 v54, 0x1700, v102
	ds_write2_b64 v54, v[65:66], v[77:78] offset0:12 offset1:233
	s_and_saveexec_b64 s[8:9], s[2:3]
	s_cbranch_execz .LBB0_11
; %bb.10:
	v_add_u32_e32 v54, 0x500, v64
	ds_write2_b64 v54, v[79:80], v[81:82] offset0:10 offset1:231
	v_add_u32_e32 v54, 0x1300, v64
	ds_write2_b64 v54, v[83:84], v[52:53] offset0:4 offset1:225
	ds_write_b64 v64, v[0:1] offset:8432
.LBB0_11:
	s_or_b64 exec, exec, s[8:9]
	s_waitcnt lgkmcnt(0)
	s_barrier
	s_and_saveexec_b64 s[8:9], s[0:1]
	s_cbranch_execz .LBB0_13
; %bb.12:
	v_mov_b32_e32 v54, s13
	v_add_co_u32_e32 v92, vcc, s12, v96
	v_addc_co_u32_e32 v93, vcc, 0, v54, vcc
	v_add_co_u32_e32 v54, vcc, 0x2288, v92
	v_addc_co_u32_e32 v55, vcc, 0, v93, vcc
	global_load_dwordx2 v[85:86], v[54:55], off offset:520
	global_load_dwordx2 v[94:95], v[54:55], off offset:1040
	;; [unrolled: 1-line block ×6, first 2 shown]
	v_add_co_u32_e32 v75, vcc, 0x2000, v92
	v_addc_co_u32_e32 v76, vcc, 0, v93, vcc
	s_movk_i32 s10, 0x3000
	v_add_co_u32_e32 v90, vcc, s10, v92
	v_addc_co_u32_e32 v91, vcc, 0, v93, vcc
	global_load_dwordx2 v[127:128], v[90:91], off offset:712
	global_load_dwordx2 v[129:130], v[75:76], off offset:648
	global_load_dwordx2 v[131:132], v[54:55], off offset:3640
	global_load_dwordx2 v[133:134], v[90:91], off offset:1232
	global_load_dwordx2 v[135:136], v[90:91], off offset:1752
	global_load_dwordx2 v[137:138], v[90:91], off offset:2272
	global_load_dwordx2 v[139:140], v[90:91], off offset:2792
	global_load_dwordx2 v[141:142], v[90:91], off offset:3312
	global_load_dwordx2 v[54:55], v[90:91], off offset:3832
	s_movk_i32 s10, 0x4000
	v_add_co_u32_e32 v75, vcc, s10, v92
	v_addc_co_u32_e32 v76, vcc, 0, v93, vcc
	global_load_dwordx2 v[143:144], v[75:76], off offset:256
	ds_read2_b64 v[90:93], v64 offset1:65
	ds_read2_b64 v[103:106], v64 offset0:130 offset1:195
	global_load_dwordx2 v[75:76], v[75:76], off offset:776
	v_add_u32_e32 v147, 0x800, v64
	ds_read2_b64 v[107:110], v147 offset0:4 offset1:69
	v_add_u32_e32 v148, 0x1000, v64
	ds_read2_b64 v[111:114], v147 offset0:134 offset1:199
	ds_read2_b64 v[115:118], v148 offset0:8 offset1:73
	s_waitcnt vmcnt(15) lgkmcnt(3)
	v_mul_f32_e32 v149, v104, v95
	s_waitcnt vmcnt(14)
	v_mul_f32_e32 v150, v106, v120
	s_waitcnt vmcnt(13) lgkmcnt(2)
	v_mul_f32_e32 v151, v108, v122
	v_mul_f32_e32 v145, v93, v86
	;; [unrolled: 1-line block ×6, first 2 shown]
	s_waitcnt vmcnt(12)
	v_mul_f32_e32 v152, v110, v124
	v_mul_f32_e32 v122, v109, v124
	s_waitcnt vmcnt(11) lgkmcnt(1)
	v_mul_f32_e32 v153, v112, v126
	v_mul_f32_e32 v124, v111, v126
	s_waitcnt vmcnt(9)
	v_mul_f32_e32 v155, v91, v130
	v_mul_f32_e32 v126, v90, v130
	v_fma_f32 v145, v92, v85, -v145
	v_fmac_f32_e32 v146, v93, v85
	v_fma_f32 v85, v103, v94, -v149
	v_fmac_f32_e32 v86, v104, v94
	;; [unrolled: 2-line block ×6, first 2 shown]
	s_waitcnt vmcnt(8)
	v_mul_f32_e32 v93, v114, v132
	v_mul_f32_e32 v92, v113, v132
	v_fma_f32 v125, v90, v129, -v155
	v_fmac_f32_e32 v126, v91, v129
	ds_write2_b64 v64, v[85:86], v[94:95] offset0:130 offset1:195
	ds_write2_b64 v147, v[119:120], v[121:122] offset0:4 offset1:69
	v_fma_f32 v91, v113, v131, -v93
	v_fmac_f32_e32 v92, v114, v131
	ds_write2_b64 v64, v[125:126], v[145:146] offset1:65
	ds_write2_b64 v147, v[123:124], v[91:92] offset0:134 offset1:199
	ds_read2_b64 v[90:93], v148 offset0:138 offset1:203
	s_waitcnt lgkmcnt(5)
	v_mul_f32_e32 v154, v116, v128
	v_mul_f32_e32 v104, v115, v128
	s_waitcnt vmcnt(7)
	v_mul_f32_e32 v85, v118, v134
	v_mul_f32_e32 v86, v117, v134
	v_fma_f32 v103, v115, v127, -v154
	v_fmac_f32_e32 v104, v116, v127
	v_fma_f32 v85, v117, v133, -v85
	v_fmac_f32_e32 v86, v118, v133
	ds_write2_b64 v148, v[103:104], v[85:86] offset0:8 offset1:73
	s_waitcnt vmcnt(6) lgkmcnt(1)
	v_mul_f32_e32 v85, v91, v136
	v_mul_f32_e32 v86, v90, v136
	v_add_u32_e32 v107, 0x1800, v64
	v_fma_f32 v85, v90, v135, -v85
	v_fmac_f32_e32 v86, v91, v135
	s_waitcnt vmcnt(5)
	v_mul_f32_e32 v90, v93, v138
	ds_read2_b64 v[103:106], v107 offset0:12 offset1:77
	v_mul_f32_e32 v91, v92, v138
	v_fma_f32 v90, v92, v137, -v90
	v_fmac_f32_e32 v91, v93, v137
	ds_write2_b64 v148, v[85:86], v[90:91] offset0:138 offset1:203
	ds_read2_b64 v[90:93], v107 offset0:142 offset1:207
	s_waitcnt vmcnt(4) lgkmcnt(2)
	v_mul_f32_e32 v85, v104, v140
	v_mul_f32_e32 v86, v103, v140
	s_waitcnt vmcnt(3)
	v_mul_f32_e32 v94, v106, v142
	v_mul_f32_e32 v95, v105, v142
	v_fma_f32 v85, v103, v139, -v85
	v_fmac_f32_e32 v86, v104, v139
	v_fma_f32 v94, v105, v141, -v94
	v_fmac_f32_e32 v95, v106, v141
	ds_write2_b64 v107, v[85:86], v[94:95] offset0:12 offset1:77
	s_waitcnt vmcnt(2) lgkmcnt(1)
	v_mul_f32_e32 v85, v91, v55
	v_mul_f32_e32 v86, v90, v55
	v_fma_f32 v85, v90, v54, -v85
	v_fmac_f32_e32 v86, v91, v54
	ds_read_b64 v[54:55], v64 offset:8320
	s_waitcnt vmcnt(1)
	v_mul_f32_e32 v90, v93, v144
	v_mul_f32_e32 v91, v92, v144
	v_fma_f32 v90, v92, v143, -v90
	v_fmac_f32_e32 v91, v93, v143
	ds_write2_b64 v107, v[85:86], v[90:91] offset0:142 offset1:207
	s_waitcnt vmcnt(0) lgkmcnt(1)
	v_mul_f32_e32 v85, v55, v76
	v_mul_f32_e32 v86, v54, v76
	v_fma_f32 v85, v54, v75, -v85
	v_fmac_f32_e32 v86, v55, v75
	ds_write_b64 v64, v[85:86] offset:8320
.LBB0_13:
	s_or_b64 exec, exec, s[8:9]
	s_waitcnt lgkmcnt(0)
	s_barrier
	s_and_saveexec_b64 s[8:9], s[0:1]
	s_cbranch_execz .LBB0_15
; %bb.14:
	v_add_u32_e32 v0, 0x800, v64
	ds_read2_b64 v[56:59], v64 offset1:65
	ds_read2_b64 v[60:63], v64 offset0:130 offset1:195
	ds_read2_b64 v[67:70], v0 offset0:4 offset1:69
	;; [unrolled: 1-line block ×3, first 2 shown]
	v_add_u32_e32 v0, 0x1000, v64
	v_add_u32_e32 v1, 0x1800, v64
	ds_read2_b64 v[83:86], v1 offset0:12 offset1:77
	ds_read2_b64 v[75:78], v0 offset0:8 offset1:73
	;; [unrolled: 1-line block ×4, first 2 shown]
	ds_read_b64 v[88:89], v64 offset:8320
	s_waitcnt lgkmcnt(4)
	v_mov_b32_e32 v52, v85
	v_mov_b32_e32 v53, v86
	s_waitcnt lgkmcnt(3)
	v_mov_b32_e32 v65, v75
	v_mov_b32_e32 v66, v76
.LBB0_15:
	s_or_b64 exec, exec, s[8:9]
	s_waitcnt lgkmcnt(0)
	v_sub_f32_e32 v119, v59, v89
	v_add_f32_e32 v103, v88, v58
	v_add_f32_e32 v121, v89, v59
	s_mov_b32 s10, 0x3ee437d1
	v_mul_f32_e32 v133, 0xbf65296c, v119
	v_sub_f32_e32 v120, v61, v3
	v_mul_f32_e32 v135, 0x3ee437d1, v121
	v_fma_f32 v54, v103, s10, -v133
	v_add_f32_e32 v104, v2, v60
	v_add_f32_e32 v123, v3, v61
	s_mov_b32 s16, 0xbf1a4643
	v_mul_f32_e32 v136, 0xbf4c4adb, v120
	v_sub_f32_e32 v105, v58, v88
	v_add_f32_e32 v54, v56, v54
	v_mov_b32_e32 v55, v135
	v_mul_f32_e32 v138, 0xbf1a4643, v123
	v_fma_f32 v85, v104, s16, -v136
	v_fmac_f32_e32 v55, 0xbf65296c, v105
	s_mov_b32 s11, 0x3dbcf732
	v_mul_f32_e32 v140, 0xbf7ee86f, v119
	v_sub_f32_e32 v107, v60, v2
	v_add_f32_e32 v54, v85, v54
	v_mov_b32_e32 v85, v138
	v_add_f32_e32 v55, v57, v55
	v_mul_f32_e32 v143, 0x3dbcf732, v121
	v_fma_f32 v75, v103, s11, -v140
	v_fmac_f32_e32 v85, 0xbf4c4adb, v107
	s_mov_b32 s17, 0xbf7ba420
	v_mul_f32_e32 v144, 0xbe3c28d5, v120
	v_add_f32_e32 v75, v56, v75
	v_mov_b32_e32 v76, v143
	v_add_f32_e32 v55, v85, v55
	v_mul_f32_e32 v147, 0xbf7ba420, v123
	v_fma_f32 v85, v104, s17, -v144
	v_fmac_f32_e32 v76, 0xbf7ee86f, v105
	v_add_f32_e32 v75, v85, v75
	v_mov_b32_e32 v85, v147
	v_sub_f32_e32 v122, v63, v1
	v_add_f32_e32 v76, v57, v76
	v_fmac_f32_e32 v85, 0xbe3c28d5, v107
	v_add_f32_e32 v106, v0, v62
	v_add_f32_e32 v125, v1, v63
	v_mul_f32_e32 v139, 0x3e3c28d5, v122
	v_add_f32_e32 v76, v85, v76
	v_mul_f32_e32 v141, 0xbf7ba420, v125
	v_fma_f32 v85, v106, s17, -v139
	v_sub_f32_e32 v109, v62, v0
	v_add_f32_e32 v54, v85, v54
	v_mov_b32_e32 v85, v141
	v_fmac_f32_e32 v85, 0x3e3c28d5, v109
	v_mul_f32_e32 v148, 0x3f763a35, v122
	v_add_f32_e32 v55, v85, v55
	v_mul_f32_e32 v151, 0xbe8c1d8e, v125
	v_fma_f32 v85, v106, s18, -v148
	v_add_f32_e32 v75, v85, v75
	v_mov_b32_e32 v85, v151
	v_sub_f32_e32 v124, v68, v53
	v_fmac_f32_e32 v85, 0x3f763a35, v109
	v_add_f32_e32 v108, v52, v67
	v_add_f32_e32 v127, v53, v68
	v_mul_f32_e32 v142, 0x3f763a35, v124
	v_add_f32_e32 v76, v85, v76
	v_mul_f32_e32 v145, 0xbe8c1d8e, v127
	v_fma_f32 v85, v108, s18, -v142
	v_sub_f32_e32 v111, v67, v52
	v_add_f32_e32 v54, v85, v54
	v_mov_b32_e32 v85, v145
	v_fmac_f32_e32 v85, 0x3f763a35, v111
	s_mov_b32 s19, 0x3f6eb680
	v_mul_f32_e32 v152, 0x3eb8f4ab, v124
	v_add_f32_e32 v55, v85, v55
	v_mul_f32_e32 v155, 0x3f6eb680, v127
	v_fma_f32 v85, v108, s19, -v152
	v_add_f32_e32 v75, v85, v75
	v_mov_b32_e32 v85, v155
	v_sub_f32_e32 v126, v70, v84
	v_fmac_f32_e32 v85, 0x3eb8f4ab, v111
	v_add_f32_e32 v110, v83, v69
	v_add_f32_e32 v129, v84, v70
	s_mov_b32 s20, 0x3f3d2fb0
	v_mul_f32_e32 v146, 0x3f2c7751, v126
	v_add_f32_e32 v76, v85, v76
	v_mul_f32_e32 v150, 0x3f3d2fb0, v129
	v_fma_f32 v85, v110, s20, -v146
	v_sub_f32_e32 v113, v69, v83
	v_add_f32_e32 v54, v85, v54
	v_mov_b32_e32 v85, v150
	v_fmac_f32_e32 v85, 0x3f2c7751, v113
	v_mul_f32_e32 v156, 0xbf65296c, v126
	v_add_f32_e32 v55, v85, v55
	v_mul_f32_e32 v159, 0x3ee437d1, v129
	v_fma_f32 v85, v110, s10, -v156
	v_add_f32_e32 v75, v85, v75
	v_mov_b32_e32 v85, v159
	v_sub_f32_e32 v128, v72, v82
	v_fmac_f32_e32 v85, 0xbf65296c, v113
	v_add_f32_e32 v112, v81, v71
	v_add_f32_e32 v132, v82, v72
	v_mul_f32_e32 v149, 0xbeb8f4ab, v128
	v_add_f32_e32 v76, v85, v76
	v_mul_f32_e32 v153, 0x3f6eb680, v132
	v_fma_f32 v85, v112, s19, -v149
	v_sub_f32_e32 v115, v71, v81
	v_add_f32_e32 v54, v85, v54
	v_mov_b32_e32 v85, v153
	v_fmac_f32_e32 v85, 0xbeb8f4ab, v115
	s_mov_b32 s21, 0xbf59a7d5
	v_mul_f32_e32 v160, 0xbf06c442, v128
	v_add_f32_e32 v55, v85, v55
	v_mul_f32_e32 v163, 0xbf59a7d5, v132
	v_fma_f32 v85, v112, s21, -v160
	v_add_f32_e32 v75, v85, v75
	v_mov_b32_e32 v85, v163
	v_sub_f32_e32 v130, v74, v80
	v_fmac_f32_e32 v85, 0xbf06c442, v115
	v_add_f32_e32 v114, v79, v73
	v_add_f32_e32 v134, v80, v74
	v_mul_f32_e32 v154, 0xbf7ee86f, v130
	v_add_f32_e32 v76, v85, v76
	v_mul_f32_e32 v158, 0x3dbcf732, v134
	v_fma_f32 v85, v114, s11, -v154
	v_sub_f32_e32 v117, v73, v79
	v_add_f32_e32 v54, v85, v54
	v_mov_b32_e32 v85, v158
	v_fmac_f32_e32 v85, 0xbf7ee86f, v117
	v_mul_f32_e32 v162, 0x3f4c4adb, v130
	v_add_f32_e32 v55, v85, v55
	v_mul_f32_e32 v165, 0xbf1a4643, v134
	v_fma_f32 v85, v114, s16, -v162
	v_add_f32_e32 v85, v85, v75
	v_mov_b32_e32 v75, v165
	v_sub_f32_e32 v131, v66, v78
	v_fmac_f32_e32 v75, 0x3f4c4adb, v117
	v_add_f32_e32 v116, v77, v65
	v_add_f32_e32 v137, v78, v66
	v_mul_f32_e32 v157, 0xbf06c442, v131
	v_add_f32_e32 v86, v75, v76
	v_mul_f32_e32 v161, 0xbf59a7d5, v137
	v_fma_f32 v75, v116, s21, -v157
	v_sub_f32_e32 v118, v65, v77
	v_add_f32_e32 v75, v75, v54
	v_mov_b32_e32 v54, v161
	v_fmac_f32_e32 v54, 0xbf06c442, v118
	v_mul_f32_e32 v166, 0x3f3d2fb0, v137
	v_add_f32_e32 v76, v54, v55
	v_mul_f32_e32 v164, 0x3f2c7751, v131
	v_mov_b32_e32 v55, v166
	v_fma_f32 v54, v116, s20, -v164
	v_fmac_f32_e32 v55, 0x3f2c7751, v118
	v_add_f32_e32 v54, v54, v85
	v_add_f32_e32 v55, v55, v86
	s_barrier
	s_and_saveexec_b64 s[8:9], s[0:1]
	s_cbranch_execz .LBB0_17
; %bb.16:
	v_mul_f32_e32 v199, 0xbf7ba420, v121
	v_mov_b32_e32 v85, v199
	v_mul_f32_e32 v200, 0x3f6eb680, v123
	v_fmac_f32_e32 v85, 0x3e3c28d5, v105
	v_mov_b32_e32 v86, v200
	v_add_f32_e32 v85, v57, v85
	v_fmac_f32_e32 v86, 0xbeb8f4ab, v107
	v_mul_f32_e32 v201, 0xbf59a7d5, v125
	v_add_f32_e32 v85, v86, v85
	v_mov_b32_e32 v86, v201
	v_fmac_f32_e32 v86, 0x3f06c442, v109
	v_mul_f32_e32 v202, 0x3f3d2fb0, v127
	v_add_f32_e32 v85, v86, v85
	v_mov_b32_e32 v86, v202
	v_fmac_f32_e32 v86, 0xbf2c7751, v111
	v_mul_f32_e32 v203, 0xbf1a4643, v129
	v_add_f32_e32 v85, v86, v85
	v_mov_b32_e32 v86, v203
	v_fmac_f32_e32 v86, 0x3f4c4adb, v113
	v_mul_f32_e32 v204, 0x3ee437d1, v132
	v_add_f32_e32 v85, v86, v85
	v_mov_b32_e32 v86, v204
	v_fmac_f32_e32 v86, 0xbf65296c, v115
	v_mul_f32_e32 v205, 0xbe8c1d8e, v134
	v_add_f32_e32 v85, v86, v85
	v_mov_b32_e32 v86, v205
	v_fmac_f32_e32 v86, 0x3f763a35, v117
	v_mul_f32_e32 v206, 0x3dbcf732, v137
	v_add_f32_e32 v85, v86, v85
	v_mov_b32_e32 v86, v206
	v_fmac_f32_e32 v86, 0xbf7ee86f, v118
	v_mul_f32_e32 v207, 0xbe3c28d5, v119
	v_add_f32_e32 v86, v86, v85
	v_mov_b32_e32 v85, v207
	v_mul_f32_e32 v208, 0x3eb8f4ab, v120
	v_fmac_f32_e32 v85, 0xbf7ba420, v103
	v_mov_b32_e32 v90, v208
	v_add_f32_e32 v85, v56, v85
	v_fmac_f32_e32 v90, 0x3f6eb680, v104
	v_mul_f32_e32 v209, 0xbf06c442, v122
	v_add_f32_e32 v85, v90, v85
	v_mov_b32_e32 v90, v209
	v_fmac_f32_e32 v90, 0xbf59a7d5, v106
	v_mul_f32_e32 v210, 0x3f2c7751, v124
	v_add_f32_e32 v85, v90, v85
	v_mov_b32_e32 v90, v210
	v_fmac_f32_e32 v90, 0x3f3d2fb0, v108
	v_mul_f32_e32 v211, 0xbf4c4adb, v126
	v_add_f32_e32 v85, v90, v85
	v_mov_b32_e32 v90, v211
	v_fmac_f32_e32 v90, 0xbf1a4643, v110
	v_mul_f32_e32 v212, 0x3f65296c, v128
	v_add_f32_e32 v85, v90, v85
	v_mov_b32_e32 v90, v212
	v_fmac_f32_e32 v90, 0x3ee437d1, v112
	v_mul_f32_e32 v213, 0xbf763a35, v130
	v_add_f32_e32 v85, v90, v85
	v_mov_b32_e32 v90, v213
	v_fmac_f32_e32 v90, 0xbe8c1d8e, v114
	v_mul_f32_e32 v214, 0x3f7ee86f, v131
	v_add_f32_e32 v85, v90, v85
	v_mov_b32_e32 v90, v214
	v_fmac_f32_e32 v90, 0x3dbcf732, v116
	v_mul_f32_e32 v215, 0xbf59a7d5, v121
	v_add_f32_e32 v85, v90, v85
	;; [unrolled: 32-line block ×4, first 2 shown]
	v_mov_b32_e32 v92, v231
	v_mul_f32_e32 v232, 0xbe8c1d8e, v123
	v_add_f32_e32 v59, v59, v57
	v_fmac_f32_e32 v92, 0x3f4c4adb, v105
	v_mov_b32_e32 v93, v232
	v_add_f32_e32 v59, v61, v59
	v_add_f32_e32 v92, v57, v92
	v_fmac_f32_e32 v93, 0xbf763a35, v107
	v_mul_f32_e32 v233, 0x3f6eb680, v125
	v_add_f32_e32 v59, v63, v59
	v_add_f32_e32 v92, v93, v92
	v_mov_b32_e32 v93, v233
	v_add_f32_e32 v59, v68, v59
	v_fmac_f32_e32 v93, 0x3eb8f4ab, v109
	v_mul_f32_e32 v234, 0xbf59a7d5, v127
	v_add_f32_e32 v59, v70, v59
	v_add_f32_e32 v92, v93, v92
	v_mov_b32_e32 v93, v234
	;; [unrolled: 6-line block ×6, first 2 shown]
	v_add_f32_e32 v1, v1, v53
	v_fmac_f32_e32 v93, 0xbf65296c, v118
	v_mul_f32_e32 v239, 0xbf4c4adb, v119
	v_add_f32_e32 v1, v3, v1
	v_add_f32_e32 v3, v58, v56
	;; [unrolled: 1-line block ×3, first 2 shown]
	v_mov_b32_e32 v92, v239
	v_mul_f32_e32 v240, 0x3f763a35, v120
	v_add_f32_e32 v3, v60, v3
	v_fmac_f32_e32 v92, 0xbf1a4643, v103
	v_mov_b32_e32 v94, v240
	v_add_f32_e32 v3, v62, v3
	v_add_f32_e32 v92, v56, v92
	v_fmac_f32_e32 v94, 0xbe8c1d8e, v104
	v_mul_f32_e32 v241, 0xbeb8f4ab, v122
	v_add_f32_e32 v3, v67, v3
	v_add_f32_e32 v92, v94, v92
	v_mov_b32_e32 v94, v241
	v_add_f32_e32 v3, v69, v3
	v_fmac_f32_e32 v94, 0x3f6eb680, v106
	v_mul_f32_e32 v242, 0xbf06c442, v124
	v_add_f32_e32 v3, v71, v3
	v_add_f32_e32 v92, v94, v92
	v_mov_b32_e32 v94, v242
	;; [unrolled: 6-line block ×5, first 2 shown]
	v_add_f32_e32 v3, v52, v3
	v_fmac_f32_e32 v94, 0xbf7ba420, v114
	v_mul_f32_e32 v246, 0x3f65296c, v131
	v_add_f32_e32 v0, v0, v3
	v_fmac_f32_e32 v199, 0xbe3c28d5, v105
	v_add_f32_e32 v92, v94, v92
	v_mov_b32_e32 v94, v246
	v_add_f32_e32 v0, v2, v0
	v_add_f32_e32 v2, v57, v199
	v_fmac_f32_e32 v200, 0x3eb8f4ab, v107
	v_fmac_f32_e32 v94, 0x3ee437d1, v116
	v_mul_f32_e32 v247, 0xbe8c1d8e, v121
	v_add_f32_e32 v2, v200, v2
	v_fmac_f32_e32 v201, 0xbf06c442, v109
	v_add_f32_e32 v92, v94, v92
	v_mov_b32_e32 v94, v247
	v_mul_f32_e32 v248, 0xbf59a7d5, v123
	v_add_f32_e32 v2, v201, v2
	v_fmac_f32_e32 v202, 0x3f2c7751, v111
	v_fmac_f32_e32 v94, 0x3f763a35, v105
	v_mov_b32_e32 v95, v248
	v_add_f32_e32 v2, v202, v2
	v_fmac_f32_e32 v203, 0xbf4c4adb, v113
	v_add_f32_e32 v94, v57, v94
	v_fmac_f32_e32 v95, 0xbf06c442, v107
	v_mul_f32_e32 v249, 0x3f3d2fb0, v125
	v_add_f32_e32 v2, v203, v2
	v_fmac_f32_e32 v204, 0x3f65296c, v115
	v_add_f32_e32 v94, v95, v94
	v_mov_b32_e32 v95, v249
	v_add_f32_e32 v2, v204, v2
	v_fmac_f32_e32 v205, 0xbf763a35, v117
	v_fmac_f32_e32 v95, 0xbf2c7751, v109
	v_mul_f32_e32 v250, 0x3ee437d1, v127
	v_add_f32_e32 v2, v205, v2
	v_fmac_f32_e32 v206, 0x3f7ee86f, v118
	v_add_f32_e32 v94, v95, v94
	v_mov_b32_e32 v95, v250
	v_add_f32_e32 v3, v206, v2
	v_fma_f32 v2, v103, s17, -v207
	v_fmac_f32_e32 v95, 0x3f65296c, v111
	v_mul_f32_e32 v251, 0xbf7ba420, v129
	v_add_f32_e32 v2, v56, v2
	v_fma_f32 v52, v104, s19, -v208
	v_add_f32_e32 v94, v95, v94
	v_mov_b32_e32 v95, v251
	v_add_f32_e32 v2, v52, v2
	v_fma_f32 v52, v106, s21, -v209
	v_fmac_f32_e32 v95, 0x3e3c28d5, v113
	v_mul_f32_e32 v252, 0x3dbcf732, v132
	v_add_f32_e32 v2, v52, v2
	v_fma_f32 v52, v108, s20, -v210
	v_add_f32_e32 v94, v95, v94
	v_mov_b32_e32 v95, v252
	v_add_f32_e32 v2, v52, v2
	v_fma_f32 v52, v110, s16, -v211
	v_fmac_f32_e32 v95, 0xbf7ee86f, v115
	v_mul_f32_e32 v253, 0x3f6eb680, v134
	v_add_f32_e32 v2, v52, v2
	v_fma_f32 v52, v112, s10, -v212
	v_add_f32_e32 v94, v95, v94
	v_mov_b32_e32 v95, v253
	v_add_f32_e32 v2, v52, v2
	v_fma_f32 v52, v114, s18, -v213
	v_fmac_f32_e32 v95, 0x3eb8f4ab, v117
	v_mul_f32_e32 v254, 0xbf1a4643, v137
	v_add_f32_e32 v2, v52, v2
	v_fma_f32 v52, v116, s11, -v214
	v_fmac_f32_e32 v215, 0xbf06c442, v105
	v_add_f32_e32 v94, v95, v94
	v_mov_b32_e32 v95, v254
	v_add_f32_e32 v2, v52, v2
	v_add_f32_e32 v52, v57, v215
	v_fmac_f32_e32 v216, 0x3f65296c, v107
	v_fmac_f32_e32 v95, 0x3f4c4adb, v118
	v_mul_f32_e32 v255, 0xbf763a35, v119
	v_add_f32_e32 v52, v216, v52
	v_fmac_f32_e32 v217, 0xbf7ee86f, v109
	buffer_store_dword v85, off, s[24:27], 0 offset:12 ; 4-byte Folded Spill
	s_nop 0
	buffer_store_dword v86, off, s[24:27], 0 offset:16 ; 4-byte Folded Spill
	v_add_f32_e32 v95, v95, v94
	v_mov_b32_e32 v94, v255
	buffer_store_dword v98, off, s[24:27], 0 ; 4-byte Folded Spill
	v_mul_f32_e32 v98, 0x3f06c442, v120
	v_add_f32_e32 v52, v217, v52
	v_fmac_f32_e32 v218, 0x3f4c4adb, v111
	v_fmac_f32_e32 v94, 0xbe8c1d8e, v103
	buffer_store_dword v99, off, s[24:27], 0 offset:20 ; 4-byte Folded Spill
	v_mov_b32_e32 v99, v98
	v_add_f32_e32 v52, v218, v52
	v_fmac_f32_e32 v219, 0xbeb8f4ab, v113
	v_add_f32_e32 v94, v56, v94
	v_fmac_f32_e32 v99, 0xbf59a7d5, v104
	buffer_store_dword v102, off, s[24:27], 0 offset:8 ; 4-byte Folded Spill
	v_mul_f32_e32 v102, 0x3f2c7751, v122
	v_add_f32_e32 v52, v219, v52
	v_fmac_f32_e32 v220, 0xbe3c28d5, v115
	v_add_f32_e32 v94, v99, v94
	v_mov_b32_e32 v99, v102
	v_add_f32_e32 v52, v220, v52
	v_fmac_f32_e32 v221, 0x3f2c7751, v117
	v_fmac_f32_e32 v99, 0x3f3d2fb0, v106
	v_mul_f32_e32 v96, 0xbf65296c, v124
	v_add_f32_e32 v52, v221, v52
	v_fmac_f32_e32 v222, 0xbf763a35, v118
	v_add_f32_e32 v94, v99, v94
	v_mov_b32_e32 v99, v96
	v_add_f32_e32 v53, v222, v52
	v_fma_f32 v52, v103, s21, -v223
	v_fmac_f32_e32 v99, 0x3ee437d1, v108
	buffer_store_dword v97, off, s[24:27], 0 offset:4 ; 4-byte Folded Spill
	v_mul_f32_e32 v97, 0xbe3c28d5, v126
	v_add_f32_e32 v52, v56, v52
	v_fma_f32 v58, v104, s10, -v224
	v_add_f32_e32 v94, v99, v94
	v_mov_b32_e32 v99, v97
	v_add_f32_e32 v52, v58, v52
	v_fma_f32 v58, v106, s11, -v225
	v_fmac_f32_e32 v99, 0xbf7ba420, v110
	v_mul_f32_e32 v90, 0x3f7ee86f, v128
	v_add_f32_e32 v52, v58, v52
	v_fma_f32 v58, v108, s16, -v226
	v_add_f32_e32 v94, v99, v94
	v_mov_b32_e32 v99, v90
	v_add_f32_e32 v52, v58, v52
	v_fma_f32 v58, v110, s19, -v227
	v_fmac_f32_e32 v99, 0x3dbcf732, v112
	v_add_f32_e32 v52, v58, v52
	v_fma_f32 v58, v112, s17, -v228
	v_add_f32_e32 v86, v99, v94
	v_mul_f32_e32 v99, 0xbeb8f4ab, v130
	v_add_f32_e32 v52, v58, v52
	v_fma_f32 v58, v114, s20, -v229
	v_mov_b32_e32 v94, v99
	v_mul_f32_e32 v85, 0xbf4c4adb, v131
	v_add_f32_e32 v52, v58, v52
	v_fma_f32 v58, v116, s18, -v230
	v_fmac_f32_e32 v231, 0xbf4c4adb, v105
	v_fmac_f32_e32 v94, 0x3f6eb680, v114
	v_mov_b32_e32 v91, v85
	v_add_f32_e32 v52, v58, v52
	v_add_f32_e32 v58, v57, v231
	v_fmac_f32_e32 v232, 0x3f763a35, v107
	v_mul_f32_e32 v170, 0xbf7ee86f, v105
	v_add_f32_e32 v86, v94, v86
	v_fmac_f32_e32 v91, 0xbf1a4643, v116
	v_add_f32_e32 v58, v232, v58
	v_fmac_f32_e32 v233, 0xbeb8f4ab, v109
	v_mul_f32_e32 v174, 0xbe3c28d5, v107
	v_add_f32_e32 v94, v91, v86
	v_sub_f32_e32 v86, v143, v170
	v_add_f32_e32 v58, v233, v58
	v_fmac_f32_e32 v234, 0xbf06c442, v111
	v_mul_f32_e32 v178, 0x3f763a35, v109
	v_add_f32_e32 v86, v57, v86
	v_sub_f32_e32 v91, v147, v174
	;; [unrolled: 5-line block ×6, first 2 shown]
	v_add_f32_e32 v59, v238, v58
	v_fma_f32 v58, v103, s16, -v239
	v_mul_f32_e32 v198, 0x3f2c7751, v118
	v_add_f32_e32 v86, v91, v86
	v_sub_f32_e32 v91, v165, v194
	v_add_f32_e32 v58, v56, v58
	v_fma_f32 v60, v104, s18, -v240
	v_mul_f32_e32 v169, 0x3dbcf732, v103
	v_add_f32_e32 v86, v91, v86
	v_sub_f32_e32 v91, v166, v198
	v_add_f32_e32 v58, v60, v58
	v_fma_f32 v60, v106, s19, -v241
	v_mul_f32_e32 v173, 0xbf7ba420, v104
	v_add_f32_e32 v163, v91, v86
	v_add_f32_e32 v86, v169, v140
	v_add_f32_e32 v58, v60, v58
	v_fma_f32 v60, v108, s21, -v242
	v_mul_f32_e32 v177, 0xbe8c1d8e, v106
	v_add_f32_e32 v86, v56, v86
	v_add_f32_e32 v91, v173, v144
	;; [unrolled: 5-line block ×5, first 2 shown]
	v_add_f32_e32 v58, v60, v58
	v_fma_f32 v60, v116, s10, -v246
	v_fmac_f32_e32 v247, 0xbf763a35, v105
	v_mul_f32_e32 v193, 0xbf1a4643, v114
	v_add_f32_e32 v86, v91, v86
	v_add_f32_e32 v91, v189, v160
	;; [unrolled: 1-line block ×4, first 2 shown]
	v_fmac_f32_e32 v248, 0x3f06c442, v107
	v_mul_f32_e32 v197, 0x3f3d2fb0, v116
	v_add_f32_e32 v86, v91, v86
	v_add_f32_e32 v91, v193, v162
	;; [unrolled: 1-line block ×3, first 2 shown]
	v_fmac_f32_e32 v249, 0x3f2c7751, v109
	v_mul_f32_e32 v171, 0xbf65296c, v105
	v_add_f32_e32 v86, v91, v86
	v_add_f32_e32 v91, v197, v164
	v_add_f32_e32 v60, v249, v60
	v_fmac_f32_e32 v250, 0xbf65296c, v111
	v_mul_f32_e32 v172, 0xbf4c4adb, v107
	v_add_f32_e32 v162, v91, v86
	v_sub_f32_e32 v86, v135, v171
	v_add_f32_e32 v60, v250, v60
	v_fmac_f32_e32 v251, 0xbe3c28d5, v113
	v_mul_f32_e32 v176, 0x3e3c28d5, v109
	v_add_f32_e32 v86, v57, v86
	v_sub_f32_e32 v91, v138, v172
	v_add_f32_e32 v60, v251, v60
	;; [unrolled: 5-line block ×5, first 2 shown]
	v_fma_f32 v60, v103, s18, -v255
	v_mul_f32_e32 v192, 0xbf7ee86f, v117
	v_add_f32_e32 v86, v91, v86
	v_sub_f32_e32 v91, v153, v188
	v_add_f32_e32 v60, v56, v60
	v_fma_f32 v62, v104, s21, -v98
	buffer_load_dword v98, off, s[24:27], 0 ; 4-byte Folded Reload
	v_mul_f32_e32 v196, 0xbf06c442, v118
	v_add_f32_e32 v86, v91, v86
	v_sub_f32_e32 v91, v158, v192
	v_add_f32_e32 v60, v62, v60
	v_fma_f32 v62, v106, s20, -v102
	buffer_load_dword v102, off, s[24:27], 0 offset:8 ; 4-byte Folded Reload
	buffer_load_dword v66, off, s[24:27], 0 offset:20 ; 4-byte Folded Reload
	v_add_f32_e32 v86, v91, v86
	v_sub_f32_e32 v91, v161, v196
	v_add_f32_e32 v140, v91, v86
	v_mul_f32_e32 v86, 0x3ee437d1, v103
	v_add_f32_e32 v86, v86, v133
	v_mul_f32_e32 v91, 0xbf1a4643, v104
	v_mul_f32_e32 v175, 0xbf7ba420, v106
	v_add_f32_e32 v86, v56, v86
	v_add_f32_e32 v91, v91, v136
	v_mul_f32_e32 v179, 0xbe8c1d8e, v108
	v_add_f32_e32 v86, v91, v86
	v_add_f32_e32 v91, v175, v139
	;; [unrolled: 3-line block ×6, first 2 shown]
	v_add_f32_e32 v86, v91, v86
	v_add_f32_e32 v91, v195, v157
	;; [unrolled: 1-line block ×3, first 2 shown]
	v_mul_f32_e32 v86, 0x3f3d2fb0, v121
	v_mov_b32_e32 v91, v86
	v_mul_f32_e32 v133, 0x3dbcf732, v123
	v_fmac_f32_e32 v91, 0x3f2c7751, v105
	v_mov_b32_e32 v135, v133
	v_add_f32_e32 v91, v57, v91
	v_fmac_f32_e32 v135, 0x3f7ee86f, v107
	v_mul_f32_e32 v138, 0xbf1a4643, v125
	v_add_f32_e32 v91, v135, v91
	v_mov_b32_e32 v135, v138
	v_fmac_f32_e32 v135, 0x3f4c4adb, v109
	v_mul_f32_e32 v141, 0xbf7ba420, v127
	v_add_f32_e32 v91, v135, v91
	v_mov_b32_e32 v135, v141
	;; [unrolled: 4-line block ×6, first 2 shown]
	v_fmac_f32_e32 v135, 0xbeb8f4ab, v118
	v_add_f32_e32 v136, v135, v91
	v_mul_f32_e32 v91, 0xbf2c7751, v119
	v_mov_b32_e32 v135, v91
	v_mul_f32_e32 v146, 0xbf7ee86f, v120
	v_fmac_f32_e32 v135, 0x3f3d2fb0, v103
	v_mov_b32_e32 v147, v146
	v_add_f32_e32 v135, v56, v135
	v_fmac_f32_e32 v147, 0x3dbcf732, v104
	v_add_f32_e32 v135, v147, v135
	v_mul_f32_e32 v147, 0xbf4c4adb, v122
	v_mov_b32_e32 v148, v147
	v_fmac_f32_e32 v148, 0xbf1a4643, v106
	v_add_f32_e32 v135, v148, v135
	v_mul_f32_e32 v148, 0xbe3c28d5, v124
	v_mov_b32_e32 v149, v148
	;; [unrolled: 4-line block ×7, first 2 shown]
	v_mul_f32_e32 v123, 0x3f3d2fb0, v123
	v_fmac_f32_e32 v121, 0x3eb8f4ab, v105
	v_mov_b32_e32 v154, v123
	v_add_f32_e32 v60, v62, v60
	v_fma_f32 v62, v108, s10, -v96
	v_add_f32_e32 v121, v57, v121
	v_fmac_f32_e32 v154, 0x3f2c7751, v107
	v_mul_f32_e32 v125, 0x3ee437d1, v125
	v_add_f32_e32 v60, v62, v60
	v_fma_f32 v62, v110, s17, -v97
	v_add_f32_e32 v121, v154, v121
	v_mov_b32_e32 v154, v125
	v_add_f32_e32 v60, v62, v60
	v_fma_f32 v62, v112, s11, -v90
	v_fmac_f32_e32 v154, 0x3f65296c, v109
	v_mul_f32_e32 v127, 0x3dbcf732, v127
	v_add_f32_e32 v60, v62, v60
	v_fma_f32 v62, v114, s19, -v99
	v_add_f32_e32 v121, v154, v121
	v_mov_b32_e32 v154, v127
	v_add_f32_e32 v60, v62, v60
	v_fma_f32 v62, v116, s16, -v85
	v_fmac_f32_e32 v86, 0xbf2c7751, v105
	v_fmac_f32_e32 v154, 0x3f7ee86f, v111
	v_mul_f32_e32 v129, 0xbe8c1d8e, v129
	v_add_f32_e32 v60, v62, v60
	v_add_f32_e32 v62, v57, v86
	v_fmac_f32_e32 v133, 0xbf7ee86f, v107
	v_add_f32_e32 v121, v154, v121
	v_mov_b32_e32 v154, v129
	v_add_f32_e32 v62, v133, v62
	v_fmac_f32_e32 v138, 0xbf4c4adb, v109
	v_fmac_f32_e32 v154, 0x3f763a35, v113
	v_mul_f32_e32 v132, 0xbf1a4643, v132
	v_add_f32_e32 v62, v138, v62
	v_fmac_f32_e32 v141, 0xbe3c28d5, v111
	v_add_f32_e32 v121, v154, v121
	v_mov_b32_e32 v154, v132
	v_add_f32_e32 v62, v141, v62
	v_fmac_f32_e32 v142, 0x3f06c442, v113
	v_fmac_f32_e32 v154, 0x3f4c4adb, v115
	v_mul_f32_e32 v134, 0xbf59a7d5, v134
	;; [unrolled: 8-line block ×3, first 2 shown]
	v_add_f32_e32 v62, v144, v62
	v_fmac_f32_e32 v145, 0x3eb8f4ab, v118
	v_add_f32_e32 v121, v154, v121
	v_mov_b32_e32 v154, v137
	v_add_f32_e32 v63, v145, v62
	v_fma_f32 v62, v103, s20, -v91
	v_fmac_f32_e32 v154, 0x3e3c28d5, v118
	v_mul_f32_e32 v119, 0xbeb8f4ab, v119
	v_add_f32_e32 v62, v56, v62
	v_fma_f32 v65, v104, s11, -v146
	v_add_f32_e32 v121, v154, v121
	v_mov_b32_e32 v154, v119
	v_mul_f32_e32 v155, 0xbf2c7751, v120
	v_add_f32_e32 v62, v65, v62
	v_fma_f32 v65, v106, s16, -v147
	v_fmac_f32_e32 v154, 0x3f6eb680, v103
	v_mov_b32_e32 v120, v155
	v_add_f32_e32 v62, v65, v62
	v_fma_f32 v65, v108, s17, -v148
	v_add_f32_e32 v154, v56, v154
	v_fmac_f32_e32 v120, 0x3f3d2fb0, v104
	v_mul_f32_e32 v122, 0xbf65296c, v122
	v_add_f32_e32 v62, v65, v62
	v_fma_f32 v65, v110, s21, -v149
	v_add_f32_e32 v120, v120, v154
	v_mov_b32_e32 v154, v122
	v_add_f32_e32 v62, v65, v62
	v_fma_f32 v65, v112, s18, -v150
	v_fmac_f32_e32 v154, 0x3ee437d1, v106
	v_mul_f32_e32 v124, 0xbf7ee86f, v124
	v_add_f32_e32 v62, v65, v62
	v_fma_f32 v65, v114, s10, -v151
	v_add_f32_e32 v120, v154, v120
	v_mov_b32_e32 v154, v124
	v_add_f32_e32 v62, v65, v62
	v_fma_f32 v65, v116, s19, -v152
	;; [unrolled: 8-line block ×6, first 2 shown]
	v_fmac_f32_e32 v154, 0xbf7ba420, v116
	buffer_load_dword v97, off, s[24:27], 0 offset:4 ; 4-byte Folded Reload
	v_add_f32_e32 v56, v65, v56
	s_waitcnt vmcnt(3)
	v_mul_lo_u16_e32 v65, 17, v98
	v_add_f32_e32 v120, v154, v120
	v_add_f32_e32 v1, v89, v1
	;; [unrolled: 1-line block ×3, first 2 shown]
	s_waitcnt vmcnt(1)
	v_lshl_add_u32 v65, v65, 3, v66
	ds_write2_b64 v65, v[0:1], v[120:121] offset1:1
	ds_write2_b64 v65, v[135:136], v[139:140] offset0:2 offset1:3
	ds_write2_b64 v65, v[162:163], v[94:95] offset0:4 offset1:5
	;; [unrolled: 1-line block ×3, first 2 shown]
	buffer_load_dword v0, off, s[24:27], 0 offset:12 ; 4-byte Folded Reload
	buffer_load_dword v1, off, s[24:27], 0 offset:16 ; 4-byte Folded Reload
	v_fmac_f32_e32 v153, 0xbeb8f4ab, v105
	v_add_f32_e32 v57, v57, v153
	v_fmac_f32_e32 v123, 0xbf2c7751, v107
	v_add_f32_e32 v57, v123, v57
	;; [unrolled: 2-line block ×6, first 2 shown]
	v_fmac_f32_e32 v134, 0xbf06c442, v117
	v_lshlrev_b32_e32 v96, 3, v98
	v_add_f32_e32 v57, v134, v57
	v_fmac_f32_e32 v137, 0xbe3c28d5, v118
	v_add_f32_e32 v57, v137, v57
	s_waitcnt vmcnt(0)
	ds_write2_b64 v65, v[0:1], v[2:3] offset0:8 offset1:9
	ds_write2_b64 v65, v[52:53], v[58:59] offset0:10 offset1:11
	;; [unrolled: 1-line block ×4, first 2 shown]
	ds_write_b64 v65, v[56:57] offset:128
.LBB0_17:
	s_or_b64 exec, exec, s[8:9]
	s_waitcnt lgkmcnt(0)
	s_barrier
	ds_read2_b64 v[0:3], v100 offset1:85
	ds_read2_b64 v[59:62], v100 offset0:170 offset1:255
	v_add_u32_e32 v52, 0x800, v100
	ds_read2_b64 v[65:68], v52 offset0:84 offset1:169
	v_add_u32_e32 v56, 0xc00, v100
	;; [unrolled: 2-line block ×3, first 2 shown]
	s_waitcnt lgkmcnt(3)
	v_mul_f32_e32 v63, v29, v3
	ds_read2_b64 v[77:80], v57 offset0:168 offset1:253
	v_fmac_f32_e32 v63, v28, v2
	v_mul_f32_e32 v2, v29, v2
	s_waitcnt lgkmcnt(3)
	v_mul_f32_e32 v29, v21, v62
	v_mul_f32_e32 v21, v21, v61
	v_fmac_f32_e32 v29, v20, v61
	v_fma_f32 v20, v20, v62, -v21
	s_waitcnt lgkmcnt(2)
	v_mul_f32_e32 v21, v23, v66
	v_mul_f32_e32 v23, v23, v65
	v_add_u32_e32 v58, 0x1800, v100
	v_fmac_f32_e32 v21, v22, v65
	v_fma_f32 v22, v22, v66, -v23
	v_mul_f32_e32 v23, v17, v68
	v_mul_f32_e32 v17, v17, v67
	ds_read2_b64 v[81:84], v58 offset0:82 offset1:167
	ds_read_b64 v[52:53], v100 offset:8160
	v_fmac_f32_e32 v23, v16, v67
	v_fma_f32 v16, v16, v68, -v17
	s_waitcnt lgkmcnt(3)
	v_mul_f32_e32 v17, v19, v70
	v_mul_f32_e32 v19, v19, v69
	v_fma_f32 v2, v28, v3, -v2
	v_mul_f32_e32 v3, v31, v60
	v_mul_f32_e32 v28, v31, v59
	v_fmac_f32_e32 v17, v18, v69
	v_fma_f32 v18, v18, v70, -v19
	v_mul_f32_e32 v19, v13, v72
	v_mul_f32_e32 v13, v13, v71
	v_fmac_f32_e32 v3, v30, v59
	v_fma_f32 v28, v30, v60, -v28
	v_fmac_f32_e32 v19, v12, v71
	v_fma_f32 v30, v12, v72, -v13
	s_waitcnt lgkmcnt(2)
	v_mul_f32_e32 v31, v15, v78
	v_mul_f32_e32 v12, v15, v77
	v_fmac_f32_e32 v31, v14, v77
	v_fma_f32 v14, v14, v78, -v12
	v_mul_f32_e32 v15, v33, v80
	v_mul_f32_e32 v12, v33, v79
	v_fmac_f32_e32 v15, v32, v79
	v_fma_f32 v32, v32, v80, -v12
	s_waitcnt lgkmcnt(1)
	v_mul_f32_e32 v33, v35, v82
	v_mul_f32_e32 v12, v35, v81
	v_fmac_f32_e32 v33, v34, v81
	v_fma_f32 v34, v34, v82, -v12
	v_mul_f32_e32 v35, v25, v84
	v_mul_f32_e32 v12, v25, v83
	v_fmac_f32_e32 v35, v24, v83
	v_fma_f32 v24, v24, v84, -v12
	s_waitcnt lgkmcnt(0)
	v_mul_f32_e32 v25, v27, v53
	v_mul_f32_e32 v12, v27, v52
	v_fmac_f32_e32 v25, v26, v52
	v_fma_f32 v26, v26, v53, -v12
	v_add_f32_e32 v12, v0, v63
	v_add_f32_e32 v13, v1, v2
	;; [unrolled: 1-line block ×23, first 2 shown]
	v_sub_f32_e32 v2, v2, v26
	v_add_f32_e32 v12, v12, v25
	v_add_f32_e32 v13, v13, v26
	;; [unrolled: 1-line block ×3, first 2 shown]
	v_sub_f32_e32 v25, v63, v25
	v_mul_f32_e32 v26, 0xbeedf032, v2
	v_mul_f32_e32 v59, 0x3f62ad3f, v52
	;; [unrolled: 1-line block ×12, first 2 shown]
	s_mov_b32 s10, 0x3f62ad3f
	v_mov_b32_e32 v53, v26
	v_mov_b32_e32 v60, v59
	s_mov_b32 s9, 0x3f116cb1
	v_mov_b32_e32 v62, v61
	v_mov_b32_e32 v65, v63
	;; [unrolled: 3-line block ×6, first 2 shown]
	v_fmac_f32_e32 v53, 0x3f62ad3f, v27
	v_fmac_f32_e32 v60, 0x3eedf032, v25
	v_fma_f32 v26, v27, s10, -v26
	v_fmac_f32_e32 v59, 0xbeedf032, v25
	v_fmac_f32_e32 v62, 0x3f116cb1, v27
	v_fmac_f32_e32 v65, 0x3f52af12, v25
	v_fma_f32 v61, v27, s9, -v61
	v_fmac_f32_e32 v63, 0xbf52af12, v25
	;; [unrolled: 4-line block ×6, first 2 shown]
	v_add_f32_e32 v25, v28, v24
	v_sub_f32_e32 v24, v28, v24
	v_add_f32_e32 v53, v0, v53
	v_add_f32_e32 v26, v0, v26
	;; [unrolled: 1-line block ×13, first 2 shown]
	v_sub_f32_e32 v3, v3, v35
	v_mul_f32_e32 v27, 0xbf52af12, v24
	v_mul_f32_e32 v35, 0x3f116cb1, v25
	v_add_f32_e32 v60, v1, v60
	v_add_f32_e32 v59, v1, v59
	;; [unrolled: 1-line block ×12, first 2 shown]
	v_mov_b32_e32 v28, v27
	v_mov_b32_e32 v52, v35
	v_fma_f32 v27, v2, s9, -v27
	v_fmac_f32_e32 v35, 0xbf52af12, v3
	v_fmac_f32_e32 v28, 0x3f116cb1, v2
	v_add_f32_e32 v26, v27, v26
	v_add_f32_e32 v27, v35, v59
	v_mul_f32_e32 v35, 0xbf6f5d39, v24
	v_add_f32_e32 v28, v28, v53
	v_mov_b32_e32 v53, v35
	v_fma_f32 v35, v2, s11, -v35
	v_fmac_f32_e32 v52, 0x3f52af12, v3
	v_fmac_f32_e32 v53, 0xbeb58ec6, v2
	v_mul_f32_e32 v59, 0xbeb58ec6, v25
	v_add_f32_e32 v35, v35, v61
	v_mul_f32_e32 v61, 0xbe750f2a, v24
	v_add_f32_e32 v52, v52, v60
	v_add_f32_e32 v53, v53, v62
	v_mov_b32_e32 v60, v59
	v_fmac_f32_e32 v59, 0xbf6f5d39, v3
	v_mov_b32_e32 v62, v61
	v_fma_f32 v61, v2, s17, -v61
	v_fmac_f32_e32 v60, 0x3f6f5d39, v3
	v_add_f32_e32 v59, v59, v63
	v_fmac_f32_e32 v62, 0xbf788fa5, v2
	v_mul_f32_e32 v63, 0xbf788fa5, v25
	v_add_f32_e32 v61, v61, v66
	v_mul_f32_e32 v66, 0x3f29c268, v24
	v_add_f32_e32 v60, v60, v65
	v_add_f32_e32 v62, v62, v67
	v_mov_b32_e32 v65, v63
	v_fmac_f32_e32 v63, 0xbe750f2a, v3
	v_mov_b32_e32 v67, v66
	v_fma_f32 v66, v2, s16, -v66
	v_fmac_f32_e32 v65, 0x3e750f2a, v3
	v_add_f32_e32 v63, v63, v68
	v_fmac_f32_e32 v67, 0xbf3f9e67, v2
	v_mul_f32_e32 v68, 0xbf3f9e67, v25
	v_add_f32_e32 v66, v66, v70
	v_mul_f32_e32 v70, 0x3f7e222b, v24
	v_add_f32_e32 v65, v65, v69
	v_add_f32_e32 v67, v67, v71
	v_mov_b32_e32 v69, v68
	v_fmac_f32_e32 v68, 0x3f29c268, v3
	v_mov_b32_e32 v71, v70
	v_fmac_f32_e32 v69, 0xbf29c268, v3
	v_add_f32_e32 v68, v68, v72
	v_fmac_f32_e32 v71, 0x3df6dbef, v2
	v_mul_f32_e32 v72, 0x3df6dbef, v25
	v_mul_f32_e32 v25, 0x3f62ad3f, v25
	v_add_f32_e32 v69, v69, v73
	v_add_f32_e32 v71, v71, v77
	v_mov_b32_e32 v73, v72
	v_fma_f32 v70, v2, s8, -v70
	v_mul_f32_e32 v24, 0x3eedf032, v24
	v_mov_b32_e32 v77, v25
	v_fmac_f32_e32 v73, 0xbf7e222b, v3
	v_add_f32_e32 v70, v70, v74
	v_fmac_f32_e32 v72, 0x3f7e222b, v3
	v_mov_b32_e32 v74, v24
	v_fmac_f32_e32 v77, 0xbeedf032, v3
	v_fmac_f32_e32 v25, 0x3eedf032, v3
	v_add_f32_e32 v3, v20, v34
	v_sub_f32_e32 v20, v20, v34
	v_fmac_f32_e32 v74, 0x3f62ad3f, v2
	v_fma_f32 v2, v2, s10, -v24
	v_add_f32_e32 v1, v25, v1
	v_mul_f32_e32 v25, 0xbf7e222b, v20
	v_add_f32_e32 v0, v2, v0
	v_add_f32_e32 v2, v29, v33
	v_sub_f32_e32 v24, v29, v33
	v_mov_b32_e32 v29, v25
	v_fmac_f32_e32 v29, 0x3df6dbef, v2
	v_add_f32_e32 v28, v29, v28
	v_mul_f32_e32 v29, 0x3df6dbef, v3
	v_mov_b32_e32 v33, v29
	v_fma_f32 v25, v2, s8, -v25
	v_fmac_f32_e32 v29, 0xbf7e222b, v24
	v_add_f32_e32 v25, v25, v26
	v_add_f32_e32 v26, v29, v27
	v_mul_f32_e32 v27, 0xbe750f2a, v20
	v_mov_b32_e32 v29, v27
	v_fma_f32 v27, v2, s17, -v27
	v_fmac_f32_e32 v29, 0xbf788fa5, v2
	v_add_f32_e32 v27, v27, v35
	v_mul_f32_e32 v35, 0x3f6f5d39, v20
	v_fmac_f32_e32 v33, 0x3f7e222b, v24
	v_add_f32_e32 v29, v29, v53
	v_mul_f32_e32 v34, 0xbf788fa5, v3
	v_mov_b32_e32 v53, v35
	v_fma_f32 v35, v2, s11, -v35
	v_add_f32_e32 v33, v33, v52
	v_mov_b32_e32 v52, v34
	v_fmac_f32_e32 v34, 0xbe750f2a, v24
	v_fmac_f32_e32 v53, 0xbeb58ec6, v2
	v_add_f32_e32 v35, v35, v61
	v_mul_f32_e32 v61, 0x3eedf032, v20
	v_fmac_f32_e32 v52, 0x3e750f2a, v24
	v_add_f32_e32 v34, v34, v59
	v_add_f32_e32 v53, v53, v62
	v_mul_f32_e32 v59, 0xbeb58ec6, v3
	v_mov_b32_e32 v62, v61
	v_fma_f32 v61, v2, s10, -v61
	v_add_f32_e32 v52, v52, v60
	v_mov_b32_e32 v60, v59
	v_fmac_f32_e32 v59, 0x3f6f5d39, v24
	v_fmac_f32_e32 v62, 0x3f62ad3f, v2
	v_add_f32_e32 v61, v61, v66
	v_mul_f32_e32 v66, 0xbf52af12, v20
	v_fmac_f32_e32 v60, 0xbf6f5d39, v24
	v_add_f32_e32 v59, v59, v63
	v_add_f32_e32 v62, v62, v67
	v_mul_f32_e32 v63, 0x3f62ad3f, v3
	v_mov_b32_e32 v67, v66
	v_fma_f32 v66, v2, s9, -v66
	v_mul_f32_e32 v20, 0xbf29c268, v20
	v_add_f32_e32 v60, v60, v65
	v_mov_b32_e32 v65, v63
	v_fmac_f32_e32 v63, 0x3eedf032, v24
	v_add_f32_e32 v66, v66, v70
	v_mov_b32_e32 v70, v20
	v_add_f32_e32 v63, v63, v68
	v_fmac_f32_e32 v67, 0x3f116cb1, v2
	v_mul_f32_e32 v68, 0x3f116cb1, v3
	v_fmac_f32_e32 v70, 0xbf3f9e67, v2
	v_mul_f32_e32 v3, 0xbf3f9e67, v3
	v_fma_f32 v2, v2, s16, -v20
	v_sub_f32_e32 v20, v22, v32
	v_fmac_f32_e32 v65, 0xbeedf032, v24
	v_add_f32_e32 v67, v67, v71
	v_mov_b32_e32 v71, v3
	v_add_f32_e32 v0, v2, v0
	v_fmac_f32_e32 v3, 0xbf29c268, v24
	v_add_f32_e32 v2, v21, v15
	v_sub_f32_e32 v15, v21, v15
	v_mul_f32_e32 v21, 0xbf6f5d39, v20
	v_add_f32_e32 v65, v65, v69
	v_mov_b32_e32 v69, v68
	v_add_f32_e32 v1, v3, v1
	v_add_f32_e32 v3, v22, v32
	v_mov_b32_e32 v22, v21
	v_fmac_f32_e32 v69, 0x3f52af12, v24
	v_fmac_f32_e32 v68, 0xbf52af12, v24
	;; [unrolled: 1-line block ×4, first 2 shown]
	v_mul_f32_e32 v24, 0xbeb58ec6, v3
	v_fma_f32 v21, v2, s11, -v21
	v_add_f32_e32 v22, v22, v28
	v_mov_b32_e32 v28, v24
	v_add_f32_e32 v21, v21, v25
	v_fmac_f32_e32 v24, 0xbf6f5d39, v15
	v_mul_f32_e32 v25, 0x3f29c268, v20
	v_add_f32_e32 v24, v24, v26
	v_mov_b32_e32 v26, v25
	v_fmac_f32_e32 v26, 0xbf3f9e67, v2
	v_add_f32_e32 v26, v26, v29
	v_mul_f32_e32 v29, 0xbf3f9e67, v3
	v_mov_b32_e32 v32, v29
	v_fma_f32 v25, v2, s16, -v25
	v_fmac_f32_e32 v29, 0x3f29c268, v15
	v_fmac_f32_e32 v28, 0x3f6f5d39, v15
	v_add_f32_e32 v25, v25, v27
	v_add_f32_e32 v27, v29, v34
	v_mul_f32_e32 v29, 0x3eedf032, v20
	v_add_f32_e32 v28, v28, v33
	v_mov_b32_e32 v33, v29
	v_fma_f32 v29, v2, s10, -v29
	v_fmac_f32_e32 v32, 0xbf29c268, v15
	v_fmac_f32_e32 v33, 0x3f62ad3f, v2
	v_mul_f32_e32 v34, 0x3f62ad3f, v3
	v_add_f32_e32 v29, v29, v35
	v_mul_f32_e32 v35, 0xbf7e222b, v20
	v_add_f32_e32 v32, v32, v52
	v_add_f32_e32 v33, v33, v53
	v_mov_b32_e32 v52, v34
	v_fmac_f32_e32 v34, 0x3eedf032, v15
	v_mov_b32_e32 v53, v35
	v_fma_f32 v35, v2, s8, -v35
	v_fmac_f32_e32 v52, 0xbeedf032, v15
	v_add_f32_e32 v34, v34, v59
	v_fmac_f32_e32 v53, 0x3df6dbef, v2
	v_mul_f32_e32 v59, 0x3df6dbef, v3
	v_add_f32_e32 v35, v35, v61
	v_mul_f32_e32 v61, 0x3e750f2a, v20
	v_add_f32_e32 v52, v52, v60
	v_add_f32_e32 v53, v53, v62
	v_mov_b32_e32 v60, v59
	v_fmac_f32_e32 v59, 0xbf7e222b, v15
	v_mov_b32_e32 v62, v61
	v_add_f32_e32 v59, v59, v63
	v_fmac_f32_e32 v62, 0xbf788fa5, v2
	v_mul_f32_e32 v63, 0xbf788fa5, v3
	v_mul_f32_e32 v3, 0x3f116cb1, v3
	v_add_f32_e32 v62, v62, v67
	v_fma_f32 v61, v2, s17, -v61
	v_mul_f32_e32 v20, 0x3f52af12, v20
	v_mov_b32_e32 v67, v3
	v_fmac_f32_e32 v3, 0x3f52af12, v15
	v_add_f32_e32 v61, v61, v66
	v_mov_b32_e32 v66, v20
	v_add_f32_e32 v1, v3, v1
	v_add_f32_e32 v3, v16, v14
	v_sub_f32_e32 v14, v16, v14
	v_fmac_f32_e32 v66, 0x3f116cb1, v2
	v_fma_f32 v2, v2, s9, -v20
	v_mul_f32_e32 v16, 0xbf29c268, v14
	v_fmac_f32_e32 v60, 0x3f7e222b, v15
	v_add_f32_e32 v0, v2, v0
	v_add_f32_e32 v2, v23, v31
	v_mov_b32_e32 v20, v16
	v_add_f32_e32 v60, v60, v65
	v_mov_b32_e32 v65, v63
	v_fmac_f32_e32 v20, 0xbf3f9e67, v2
	v_fmac_f32_e32 v65, 0xbe750f2a, v15
	;; [unrolled: 1-line block ×4, first 2 shown]
	v_sub_f32_e32 v15, v23, v31
	v_add_f32_e32 v20, v20, v22
	v_mul_f32_e32 v22, 0xbf3f9e67, v3
	v_mov_b32_e32 v23, v22
	v_fma_f32 v16, v2, s16, -v16
	v_fmac_f32_e32 v22, 0xbf29c268, v15
	v_add_f32_e32 v16, v16, v21
	v_add_f32_e32 v21, v22, v24
	v_mul_f32_e32 v22, 0x3f7e222b, v14
	v_mov_b32_e32 v24, v22
	v_fmac_f32_e32 v24, 0x3df6dbef, v2
	v_fmac_f32_e32 v23, 0x3f29c268, v15
	v_add_f32_e32 v24, v24, v26
	v_mul_f32_e32 v26, 0x3df6dbef, v3
	v_add_f32_e32 v23, v23, v28
	v_mov_b32_e32 v28, v26
	v_fma_f32 v22, v2, s8, -v22
	v_fmac_f32_e32 v26, 0x3f7e222b, v15
	v_fmac_f32_e32 v28, 0xbf7e222b, v15
	v_add_f32_e32 v22, v22, v25
	v_add_f32_e32 v25, v26, v27
	v_mul_f32_e32 v26, 0xbf52af12, v14
	v_mul_f32_e32 v31, 0x3f116cb1, v3
	v_add_f32_e32 v28, v28, v32
	v_mov_b32_e32 v27, v26
	v_mov_b32_e32 v32, v31
	v_fma_f32 v26, v2, s9, -v26
	v_fmac_f32_e32 v31, 0xbf52af12, v15
	v_fmac_f32_e32 v27, 0x3f116cb1, v2
	;; [unrolled: 1-line block ×3, first 2 shown]
	v_add_f32_e32 v26, v26, v29
	v_add_f32_e32 v29, v31, v34
	v_mul_f32_e32 v31, 0x3e750f2a, v14
	v_mul_f32_e32 v34, 0xbf788fa5, v3
	v_add_f32_e32 v27, v27, v33
	v_add_f32_e32 v32, v32, v52
	v_mov_b32_e32 v33, v31
	v_mov_b32_e32 v52, v34
	v_fma_f32 v31, v2, s17, -v31
	v_fmac_f32_e32 v52, 0xbe750f2a, v15
	v_add_f32_e32 v31, v31, v35
	v_mul_f32_e32 v35, 0x3eedf032, v14
	v_add_f32_e32 v60, v52, v60
	v_mov_b32_e32 v52, v35
	v_add_f32_e32 v72, v72, v78
	v_fmac_f32_e32 v34, 0x3e750f2a, v15
	v_fmac_f32_e32 v52, 0x3f62ad3f, v2
	v_add_f32_e32 v68, v68, v72
	v_fmac_f32_e32 v33, 0xbf788fa5, v2
	v_add_f32_e32 v34, v34, v59
	v_add_f32_e32 v59, v52, v62
	v_mul_f32_e32 v52, 0x3f62ad3f, v3
	v_add_f32_e32 v74, v74, v80
	v_add_f32_e32 v63, v63, v68
	;; [unrolled: 1-line block ×3, first 2 shown]
	v_mov_b32_e32 v53, v52
	v_fma_f32 v35, v2, s10, -v35
	v_fmac_f32_e32 v52, 0x3eedf032, v15
	v_mul_f32_e32 v14, 0xbf6f5d39, v14
	v_add_f32_e32 v73, v73, v79
	v_add_f32_e32 v70, v70, v74
	;; [unrolled: 1-line block ×4, first 2 shown]
	v_mov_b32_e32 v52, v14
	v_add_f32_e32 v77, v77, v81
	v_add_f32_e32 v69, v69, v73
	;; [unrolled: 1-line block ×3, first 2 shown]
	v_fmac_f32_e32 v52, 0xbeb58ec6, v2
	v_mul_f32_e32 v3, 0xbeb58ec6, v3
	v_add_f32_e32 v71, v71, v77
	v_add_f32_e32 v65, v65, v69
	;; [unrolled: 1-line block ×3, first 2 shown]
	v_mov_b32_e32 v52, v3
	v_fma_f32 v2, v2, s11, -v14
	v_add_f32_e32 v69, v18, v30
	v_sub_f32_e32 v30, v18, v30
	v_add_f32_e32 v67, v67, v71
	v_fmac_f32_e32 v53, 0xbeedf032, v15
	v_fmac_f32_e32 v52, 0x3f6f5d39, v15
	v_add_f32_e32 v66, v2, v0
	v_fmac_f32_e32 v3, 0xbf6f5d39, v15
	v_mul_f32_e32 v0, 0xbe750f2a, v30
	v_add_f32_e32 v62, v53, v65
	v_add_f32_e32 v65, v52, v67
	;; [unrolled: 1-line block ×4, first 2 shown]
	v_mov_b32_e32 v1, v0
	v_fmac_f32_e32 v1, 0xbf788fa5, v68
	v_sub_f32_e32 v70, v17, v19
	v_add_f32_e32 v14, v1, v20
	v_mul_f32_e32 v1, 0xbf788fa5, v69
	v_fma_f32 v0, v68, s17, -v0
	v_mov_b32_e32 v2, v1
	v_add_f32_e32 v52, v0, v16
	v_fmac_f32_e32 v1, 0xbe750f2a, v70
	v_mul_f32_e32 v0, 0x3eedf032, v30
	v_add_f32_e32 v53, v1, v21
	v_mov_b32_e32 v1, v0
	v_fmac_f32_e32 v1, 0x3f62ad3f, v68
	v_fmac_f32_e32 v2, 0x3e750f2a, v70
	v_add_f32_e32 v16, v1, v24
	v_mul_f32_e32 v1, 0x3f62ad3f, v69
	v_add_f32_e32 v15, v2, v23
	v_mov_b32_e32 v2, v1
	v_fmac_f32_e32 v2, 0xbeedf032, v70
	v_fma_f32 v0, v68, s10, -v0
	v_add_f32_e32 v17, v2, v28
	v_add_f32_e32 v2, v0, v22
	v_fmac_f32_e32 v1, 0x3eedf032, v70
	v_mul_f32_e32 v0, 0xbf29c268, v30
	v_add_f32_e32 v3, v1, v25
	v_mov_b32_e32 v1, v0
	v_fmac_f32_e32 v1, 0xbf3f9e67, v68
	v_mul_f32_e32 v22, 0x3f52af12, v30
	v_add_f32_e32 v18, v1, v27
	v_mul_f32_e32 v1, 0xbf3f9e67, v69
	v_fma_f32 v0, v68, s16, -v0
	v_mov_b32_e32 v20, v22
	v_fma_f32 v22, v68, s9, -v22
	v_mov_b32_e32 v19, v1
	v_add_f32_e32 v0, v0, v26
	v_fmac_f32_e32 v1, 0xbf29c268, v70
	v_mul_f32_e32 v23, 0x3f116cb1, v69
	v_add_f32_e32 v22, v22, v31
	v_mul_f32_e32 v26, 0xbf6f5d39, v30
	v_mul_f32_e32 v27, 0xbeb58ec6, v69
	;; [unrolled: 1-line block ×4, first 2 shown]
	v_add_f32_e32 v1, v1, v29
	v_mov_b32_e32 v21, v23
	v_mov_b32_e32 v24, v26
	;; [unrolled: 1-line block ×5, first 2 shown]
	v_fmac_f32_e32 v19, 0x3f29c268, v70
	v_fmac_f32_e32 v20, 0x3f116cb1, v68
	;; [unrolled: 1-line block ×6, first 2 shown]
	v_fma_f32 v26, v68, s11, -v26
	v_fmac_f32_e32 v27, 0xbf6f5d39, v70
	v_fmac_f32_e32 v28, 0x3df6dbef, v68
	;; [unrolled: 1-line block ×3, first 2 shown]
	v_fma_f32 v30, v68, s8, -v30
	v_fmac_f32_e32 v31, 0x3f7e222b, v70
	v_add_f32_e32 v19, v19, v32
	v_add_f32_e32 v20, v20, v33
	v_add_f32_e32 v21, v21, v60
	v_add_f32_e32 v23, v23, v34
	v_add_f32_e32 v24, v24, v59
	v_add_f32_e32 v25, v25, v62
	v_add_f32_e32 v26, v26, v35
	v_add_f32_e32 v27, v27, v61
	v_add_f32_e32 v28, v28, v63
	v_add_f32_e32 v29, v29, v65
	v_add_f32_e32 v30, v30, v66
	v_add_f32_e32 v31, v31, v67
	s_barrier
	ds_write2_b64 v101, v[12:13], v[14:15] offset1:17
	ds_write2_b64 v101, v[16:17], v[18:19] offset0:34 offset1:51
	ds_write2_b64 v101, v[20:21], v[24:25] offset0:68 offset1:85
	ds_write2_b64 v101, v[28:29], v[30:31] offset0:102 offset1:119
	ds_write2_b64 v101, v[26:27], v[22:23] offset0:136 offset1:153
	ds_write2_b64 v101, v[0:1], v[2:3] offset0:170 offset1:187
	ds_write_b64 v101, v[52:53] offset:1632
	v_add_u32_e32 v16, 0x400, v100
	s_waitcnt lgkmcnt(0)
	s_barrier
	ds_read2_b64 v[12:15], v100 offset1:85
	ds_read2_b64 v[28:31], v16 offset0:93 offset1:178
	ds_read2_b64 v[24:27], v56 offset0:58 offset1:143
	;; [unrolled: 1-line block ×4, first 2 shown]
	v_add_u32_e32 v32, 0x2a8, v102
	s_and_saveexec_b64 s[8:9], s[2:3]
	s_cbranch_execz .LBB0_19
; %bb.18:
	v_add_u32_e32 v0, 0x500, v100
	v_add_u32_e32 v33, 0x1300, v100
	ds_read2_b64 v[0:3], v0 offset0:10 offset1:231
	ds_read2_b64 v[52:55], v33 offset0:4 offset1:225
	ds_read_b64 v[75:76], v100 offset:8432
.LBB0_19:
	s_or_b64 exec, exec, s[8:9]
	s_waitcnt lgkmcnt(3)
	v_mul_f32_e32 v33, v45, v29
	v_fmac_f32_e32 v33, v44, v28
	v_mul_f32_e32 v28, v45, v28
	v_fma_f32 v28, v44, v29, -v28
	s_waitcnt lgkmcnt(2)
	v_mul_f32_e32 v29, v47, v25
	v_fmac_f32_e32 v29, v46, v24
	v_mul_f32_e32 v24, v47, v24
	v_fma_f32 v24, v46, v25, -v24
	s_waitcnt lgkmcnt(1)
	v_mul_f32_e32 v25, v37, v21
	v_fmac_f32_e32 v25, v36, v20
	v_mul_f32_e32 v20, v37, v20
	v_fma_f32 v34, v36, v21, -v20
	s_waitcnt lgkmcnt(0)
	v_mul_f32_e32 v21, v39, v17
	v_fmac_f32_e32 v21, v38, v16
	v_mul_f32_e32 v16, v39, v16
	v_fma_f32 v35, v38, v17, -v16
	v_mul_f32_e32 v16, v49, v30
	v_fma_f32 v37, v48, v31, -v16
	v_mul_f32_e32 v16, v51, v26
	v_fma_f32 v38, v50, v27, -v16
	v_mul_f32_e32 v39, v41, v23
	v_mul_f32_e32 v16, v41, v22
	;; [unrolled: 1-line block ×3, first 2 shown]
	v_add_f32_e32 v17, v29, v25
	v_fmac_f32_e32 v39, v40, v22
	v_fma_f32 v40, v40, v23, -v16
	v_fmac_f32_e32 v41, v42, v18
	v_mul_f32_e32 v16, v43, v18
	v_fma_f32 v18, -0.5, v17, v12
	v_sub_f32_e32 v17, v28, v35
	v_mov_b32_e32 v20, v18
	v_fma_f32 v42, v42, v19, -v16
	v_fmac_f32_e32 v20, 0xbf737871, v17
	v_sub_f32_e32 v19, v24, v34
	v_sub_f32_e32 v22, v33, v29
	;; [unrolled: 1-line block ×3, first 2 shown]
	v_fmac_f32_e32 v18, 0x3f737871, v17
	v_fmac_f32_e32 v20, 0xbf167918, v19
	v_add_f32_e32 v22, v22, v23
	v_fmac_f32_e32 v18, 0x3f167918, v19
	v_fmac_f32_e32 v20, 0x3e9e377a, v22
	;; [unrolled: 1-line block ×3, first 2 shown]
	v_add_f32_e32 v22, v33, v21
	v_add_f32_e32 v16, v12, v33
	v_fma_f32 v12, -0.5, v22, v12
	v_mov_b32_e32 v22, v12
	v_mul_f32_e32 v36, v49, v31
	v_mul_f32_e32 v31, v51, v27
	v_add_f32_e32 v16, v16, v29
	v_fmac_f32_e32 v22, 0x3f737871, v19
	v_fmac_f32_e32 v12, 0xbf737871, v19
	v_add_f32_e32 v19, v24, v34
	v_fmac_f32_e32 v31, v50, v26
	v_add_f32_e32 v16, v16, v25
	v_sub_f32_e32 v23, v29, v33
	v_sub_f32_e32 v26, v25, v21
	v_fma_f32 v19, -0.5, v19, v13
	v_add_f32_e32 v16, v16, v21
	v_fmac_f32_e32 v22, 0xbf167918, v17
	v_add_f32_e32 v23, v23, v26
	v_fmac_f32_e32 v12, 0x3f167918, v17
	v_sub_f32_e32 v26, v33, v21
	v_mov_b32_e32 v21, v19
	v_fmac_f32_e32 v22, 0x3e9e377a, v23
	v_fmac_f32_e32 v12, 0x3e9e377a, v23
	;; [unrolled: 1-line block ×3, first 2 shown]
	v_sub_f32_e32 v25, v29, v25
	v_sub_f32_e32 v23, v28, v24
	v_sub_f32_e32 v27, v35, v34
	v_fmac_f32_e32 v19, 0xbf737871, v26
	v_fmac_f32_e32 v21, 0x3f167918, v25
	v_add_f32_e32 v23, v23, v27
	v_fmac_f32_e32 v19, 0xbf167918, v25
	v_fmac_f32_e32 v21, 0x3e9e377a, v23
	;; [unrolled: 1-line block ×3, first 2 shown]
	v_add_f32_e32 v23, v28, v35
	v_add_f32_e32 v17, v13, v28
	v_fma_f32 v13, -0.5, v23, v13
	v_mov_b32_e32 v23, v13
	v_fmac_f32_e32 v23, 0xbf737871, v25
	v_fmac_f32_e32 v13, 0x3f737871, v25
	v_add_f32_e32 v25, v31, v39
	v_fmac_f32_e32 v23, 0x3f167918, v26
	v_fmac_f32_e32 v13, 0xbf167918, v26
	v_fma_f32 v26, -0.5, v25, v14
	v_fmac_f32_e32 v36, v48, v30
	v_add_f32_e32 v17, v17, v24
	v_sub_f32_e32 v24, v24, v28
	v_sub_f32_e32 v27, v34, v35
	;; [unrolled: 1-line block ×3, first 2 shown]
	v_mov_b32_e32 v28, v26
	v_add_f32_e32 v24, v24, v27
	v_fmac_f32_e32 v28, 0xbf737871, v25
	v_sub_f32_e32 v27, v38, v40
	v_sub_f32_e32 v29, v36, v31
	;; [unrolled: 1-line block ×3, first 2 shown]
	v_fmac_f32_e32 v26, 0x3f737871, v25
	v_fmac_f32_e32 v28, 0xbf167918, v27
	v_add_f32_e32 v29, v29, v30
	v_fmac_f32_e32 v26, 0x3f167918, v27
	v_fmac_f32_e32 v28, 0x3e9e377a, v29
	;; [unrolled: 1-line block ×3, first 2 shown]
	v_add_f32_e32 v29, v36, v41
	v_fmac_f32_e32 v23, 0x3e9e377a, v24
	v_fmac_f32_e32 v13, 0x3e9e377a, v24
	v_add_f32_e32 v24, v14, v36
	v_fma_f32 v14, -0.5, v29, v14
	v_mov_b32_e32 v30, v14
	v_fmac_f32_e32 v30, 0x3f737871, v27
	v_sub_f32_e32 v29, v31, v36
	v_sub_f32_e32 v33, v39, v41
	v_fmac_f32_e32 v14, 0xbf737871, v27
	v_add_f32_e32 v27, v38, v40
	v_fmac_f32_e32 v30, 0xbf167918, v25
	v_add_f32_e32 v29, v29, v33
	v_fmac_f32_e32 v14, 0x3f167918, v25
	v_fma_f32 v27, -0.5, v27, v15
	v_add_f32_e32 v17, v17, v34
	v_fmac_f32_e32 v30, 0x3e9e377a, v29
	v_fmac_f32_e32 v14, 0x3e9e377a, v29
	v_sub_f32_e32 v33, v36, v41
	v_mov_b32_e32 v29, v27
	v_add_f32_e32 v17, v17, v35
	v_add_f32_e32 v24, v24, v31
	v_fmac_f32_e32 v29, 0x3f737871, v33
	v_sub_f32_e32 v34, v31, v39
	v_sub_f32_e32 v31, v37, v38
	;; [unrolled: 1-line block ×3, first 2 shown]
	v_fmac_f32_e32 v27, 0xbf737871, v33
	v_fmac_f32_e32 v29, 0x3f167918, v34
	v_add_f32_e32 v31, v31, v35
	v_fmac_f32_e32 v27, 0xbf167918, v34
	v_fmac_f32_e32 v29, 0x3e9e377a, v31
	;; [unrolled: 1-line block ×3, first 2 shown]
	v_add_f32_e32 v31, v37, v42
	v_add_f32_e32 v25, v15, v37
	v_fmac_f32_e32 v15, -0.5, v31
	v_mov_b32_e32 v31, v15
	v_fmac_f32_e32 v31, 0xbf737871, v34
	v_fmac_f32_e32 v15, 0x3f737871, v34
	v_add_f32_e32 v25, v25, v38
	v_fmac_f32_e32 v31, 0x3f167918, v33
	v_sub_f32_e32 v35, v38, v37
	v_sub_f32_e32 v36, v40, v42
	v_fmac_f32_e32 v15, 0xbf167918, v33
	v_add_u32_e32 v33, 0x600, v64
	v_add_f32_e32 v24, v24, v39
	v_add_f32_e32 v25, v25, v40
	;; [unrolled: 1-line block ×3, first 2 shown]
	ds_write2_b64 v33, v[20:21], v[22:23] offset0:29 offset1:250
	v_add_u32_e32 v20, 0x1400, v64
	v_add_f32_e32 v24, v24, v41
	v_add_f32_e32 v25, v25, v42
	v_fmac_f32_e32 v31, 0x3e9e377a, v35
	ds_write2_b64 v20, v[12:13], v[18:19] offset0:23 offset1:244
	ds_write2_b64 v64, v[16:17], v[24:25] offset1:85
	v_add_u32_e32 v12, 0x600, v32
	v_fmac_f32_e32 v15, 0x3e9e377a, v35
	ds_write2_b64 v12, v[28:29], v[30:31] offset0:29 offset1:250
	v_add_u32_e32 v12, 0x1400, v32
	ds_write2_b64 v12, v[14:15], v[26:27] offset0:23 offset1:244
	v_lshl_add_u32 v12, v97, 3, v96
	s_and_saveexec_b64 s[8:9], s[2:3]
	s_cbranch_execz .LBB0_21
; %bb.20:
	v_mul_f32_e32 v13, v11, v52
	v_mul_f32_e32 v14, v9, v2
	;; [unrolled: 1-line block ×4, first 2 shown]
	v_fma_f32 v13, v10, v53, -v13
	v_fma_f32 v14, v8, v3, -v14
	;; [unrolled: 1-line block ×4, first 2 shown]
	v_mul_f32_e32 v19, v9, v3
	v_mul_f32_e32 v7, v7, v76
	v_sub_f32_e32 v15, v13, v14
	v_sub_f32_e32 v18, v16, v17
	v_fmac_f32_e32 v19, v8, v2
	v_fmac_f32_e32 v7, v6, v75
	v_sub_f32_e32 v2, v14, v13
	v_sub_f32_e32 v6, v17, v16
	v_add_f32_e32 v15, v15, v18
	v_mul_f32_e32 v18, v5, v55
	v_add_f32_e32 v8, v2, v6
	v_add_f32_e32 v2, v13, v16
	v_mul_f32_e32 v11, v11, v53
	v_fmac_f32_e32 v18, v4, v54
	v_add_f32_e32 v4, v14, v17
	v_fma_f32 v2, -0.5, v2, v1
	v_fmac_f32_e32 v11, v10, v52
	v_fma_f32 v4, -0.5, v4, v1
	v_sub_f32_e32 v3, v19, v7
	v_mov_b32_e32 v6, v2
	v_add_f32_e32 v1, v1, v14
	v_sub_f32_e32 v5, v11, v18
	v_mov_b32_e32 v10, v4
	v_fmac_f32_e32 v6, 0xbf737871, v3
	v_fmac_f32_e32 v2, 0x3f737871, v3
	v_add_f32_e32 v1, v1, v13
	v_fmac_f32_e32 v10, 0x3f737871, v5
	v_fmac_f32_e32 v4, 0xbf737871, v5
	;; [unrolled: 1-line block ×4, first 2 shown]
	v_add_f32_e32 v1, v1, v16
	v_fmac_f32_e32 v10, 0xbf167918, v3
	v_fmac_f32_e32 v4, 0x3f167918, v3
	;; [unrolled: 1-line block ×4, first 2 shown]
	v_add_f32_e32 v8, v1, v17
	v_sub_f32_e32 v1, v11, v19
	v_sub_f32_e32 v3, v18, v7
	v_add_f32_e32 v1, v1, v3
	v_add_f32_e32 v3, v19, v7
	v_fma_f32 v3, -0.5, v3, v0
	v_sub_f32_e32 v13, v13, v16
	v_mov_b32_e32 v9, v3
	v_sub_f32_e32 v14, v14, v17
	v_fmac_f32_e32 v9, 0xbf737871, v13
	v_fmac_f32_e32 v3, 0x3f737871, v13
	v_fmac_f32_e32 v9, 0x3f167918, v14
	v_fmac_f32_e32 v3, 0xbf167918, v14
	v_fmac_f32_e32 v9, 0x3e9e377a, v1
	v_fmac_f32_e32 v3, 0x3e9e377a, v1
	v_sub_f32_e32 v1, v19, v11
	v_sub_f32_e32 v5, v7, v18
	v_fmac_f32_e32 v10, 0x3e9e377a, v15
	v_fmac_f32_e32 v4, 0x3e9e377a, v15
	v_add_f32_e32 v15, v1, v5
	v_add_f32_e32 v1, v11, v18
	v_fma_f32 v1, -0.5, v1, v0
	v_add_f32_e32 v0, v0, v19
	v_mov_b32_e32 v5, v1
	v_fmac_f32_e32 v1, 0xbf737871, v14
	v_add_f32_e32 v0, v0, v11
	v_fmac_f32_e32 v1, 0xbf167918, v13
	v_add_f32_e32 v0, v0, v18
	v_fmac_f32_e32 v5, 0x3f737871, v14
	v_fmac_f32_e32 v1, 0x3e9e377a, v15
	v_add_f32_e32 v7, v0, v7
	v_add_u32_e32 v0, 0x500, v12
	v_fmac_f32_e32 v5, 0x3f167918, v13
	ds_write2_b64 v0, v[7:8], v[1:2] offset0:10 offset1:231
	v_add_u32_e32 v0, 0x1300, v12
	v_fmac_f32_e32 v5, 0x3e9e377a, v15
	ds_write2_b64 v0, v[3:4], v[9:10] offset0:4 offset1:225
	ds_write_b64 v12, v[5:6] offset:8432
.LBB0_21:
	s_or_b64 exec, exec, s[8:9]
	s_waitcnt lgkmcnt(0)
	s_barrier
	s_and_b64 exec, exec, s[0:1]
	s_cbranch_execz .LBB0_23
; %bb.22:
	global_load_dwordx2 v[0:1], v96, s[12:13]
	ds_read_b64 v[4:5], v64
	v_mad_u64_u32 v[2:3], s[0:1], s6, v87, 0
	v_mad_u64_u32 v[6:7], s[0:1], s4, v98, 0
	s_waitcnt lgkmcnt(0)
	v_mad_u64_u32 v[8:9], s[2:3], s7, v87, v[3:4]
	s_mov_b32 s0, 0x1da7801e
	s_mov_b32 s1, 0x3f4da780
	v_mad_u64_u32 v[9:10], s[2:3], s5, v98, v[7:8]
	v_mov_b32_e32 v11, s15
	s_mul_i32 s3, s5, 0x208
	v_mov_b32_e32 v7, v9
	v_lshlrev_b64 v[6:7], 3, v[6:7]
	s_mul_hi_u32 s5, s4, 0x208
	s_mul_i32 s2, s4, 0x208
	s_add_i32 s3, s5, s3
	s_movk_i32 s4, 0x1000
	v_mov_b32_e32 v13, s3
	s_waitcnt vmcnt(0)
	v_mul_f32_e32 v3, v5, v1
	v_mul_f32_e32 v1, v4, v1
	v_fmac_f32_e32 v3, v4, v0
	v_fma_f32 v4, v0, v5, -v1
	v_cvt_f64_f32_e32 v[0:1], v3
	v_cvt_f64_f32_e32 v[4:5], v4
	v_mov_b32_e32 v3, v8
	v_lshlrev_b64 v[2:3], 3, v[2:3]
	v_mul_f64 v[0:1], v[0:1], s[0:1]
	v_mul_f64 v[4:5], v[4:5], s[0:1]
	v_add_co_u32_e32 v2, vcc, s14, v2
	v_addc_co_u32_e32 v3, vcc, v11, v3, vcc
	v_cvt_f32_f64_e32 v0, v[0:1]
	v_cvt_f32_f64_e32 v1, v[4:5]
	v_add_co_u32_e32 v4, vcc, v2, v6
	v_addc_co_u32_e32 v5, vcc, v3, v7, vcc
	global_store_dwordx2 v[4:5], v[0:1], off
	global_load_dwordx2 v[6:7], v96, s[12:13] offset:520
	ds_read2_b64 v[0:3], v12 offset0:65 offset1:130
	v_add_co_u32_e32 v4, vcc, s2, v4
	s_waitcnt vmcnt(0) lgkmcnt(0)
	v_mul_f32_e32 v8, v1, v7
	v_mul_f32_e32 v7, v0, v7
	v_fmac_f32_e32 v8, v0, v6
	v_fma_f32 v6, v6, v1, -v7
	v_cvt_f64_f32_e32 v[0:1], v8
	v_cvt_f64_f32_e32 v[6:7], v6
	v_mov_b32_e32 v8, s3
	v_addc_co_u32_e32 v5, vcc, v5, v8, vcc
	v_mul_f64 v[0:1], v[0:1], s[0:1]
	v_mul_f64 v[6:7], v[6:7], s[0:1]
	v_cvt_f32_f64_e32 v0, v[0:1]
	v_cvt_f32_f64_e32 v1, v[6:7]
	global_store_dwordx2 v[4:5], v[0:1], off
	global_load_dwordx2 v[0:1], v96, s[12:13] offset:1040
	v_add_co_u32_e32 v4, vcc, s2, v4
	s_waitcnt vmcnt(0)
	v_mul_f32_e32 v6, v3, v1
	v_mul_f32_e32 v1, v2, v1
	v_fmac_f32_e32 v6, v2, v0
	v_fma_f32 v2, v0, v3, -v1
	v_cvt_f64_f32_e32 v[0:1], v6
	v_cvt_f64_f32_e32 v[2:3], v2
	v_mov_b32_e32 v6, s3
	v_addc_co_u32_e32 v5, vcc, v5, v6, vcc
	v_mul_f64 v[0:1], v[0:1], s[0:1]
	v_mul_f64 v[2:3], v[2:3], s[0:1]
	v_cvt_f32_f64_e32 v0, v[0:1]
	v_cvt_f32_f64_e32 v1, v[2:3]
	global_store_dwordx2 v[4:5], v[0:1], off
	global_load_dwordx2 v[6:7], v96, s[12:13] offset:1560
	v_add_u32_e32 v0, 0x400, v12
	ds_read2_b64 v[0:3], v0 offset0:67 offset1:132
	v_add_co_u32_e32 v4, vcc, s2, v4
	s_waitcnt vmcnt(0) lgkmcnt(0)
	v_mul_f32_e32 v8, v1, v7
	v_mul_f32_e32 v7, v0, v7
	v_fmac_f32_e32 v8, v0, v6
	v_fma_f32 v6, v6, v1, -v7
	v_cvt_f64_f32_e32 v[0:1], v8
	v_cvt_f64_f32_e32 v[6:7], v6
	v_mov_b32_e32 v8, s3
	v_addc_co_u32_e32 v5, vcc, v5, v8, vcc
	v_mul_f64 v[0:1], v[0:1], s[0:1]
	v_mul_f64 v[6:7], v[6:7], s[0:1]
	v_cvt_f32_f64_e32 v0, v[0:1]
	v_cvt_f32_f64_e32 v1, v[6:7]
	global_store_dwordx2 v[4:5], v[0:1], off
	global_load_dwordx2 v[0:1], v96, s[12:13] offset:2080
	v_add_co_u32_e32 v4, vcc, s2, v4
	s_waitcnt vmcnt(0)
	v_mul_f32_e32 v6, v3, v1
	v_mul_f32_e32 v1, v2, v1
	v_fmac_f32_e32 v6, v2, v0
	v_fma_f32 v2, v0, v3, -v1
	v_cvt_f64_f32_e32 v[0:1], v6
	v_cvt_f64_f32_e32 v[2:3], v2
	v_mov_b32_e32 v6, s3
	v_addc_co_u32_e32 v5, vcc, v5, v6, vcc
	v_mul_f64 v[0:1], v[0:1], s[0:1]
	v_mul_f64 v[2:3], v[2:3], s[0:1]
	v_cvt_f32_f64_e32 v0, v[0:1]
	v_cvt_f32_f64_e32 v1, v[2:3]
	global_store_dwordx2 v[4:5], v[0:1], off
	global_load_dwordx2 v[6:7], v96, s[12:13] offset:2600
	v_add_u32_e32 v0, 0x800, v12
	ds_read2_b64 v[0:3], v0 offset0:69 offset1:134
	v_add_co_u32_e32 v4, vcc, s2, v4
	s_waitcnt vmcnt(0) lgkmcnt(0)
	v_mul_f32_e32 v8, v1, v7
	v_mul_f32_e32 v7, v0, v7
	v_fmac_f32_e32 v8, v0, v6
	v_fma_f32 v6, v6, v1, -v7
	v_cvt_f64_f32_e32 v[0:1], v8
	v_cvt_f64_f32_e32 v[6:7], v6
	v_mov_b32_e32 v8, s3
	v_addc_co_u32_e32 v5, vcc, v5, v8, vcc
	v_mul_f64 v[0:1], v[0:1], s[0:1]
	v_mul_f64 v[6:7], v[6:7], s[0:1]
	v_cvt_f32_f64_e32 v0, v[0:1]
	v_cvt_f32_f64_e32 v1, v[6:7]
	global_store_dwordx2 v[4:5], v[0:1], off
	global_load_dwordx2 v[0:1], v96, s[12:13] offset:3120
	v_add_co_u32_e32 v4, vcc, s2, v4
	s_waitcnt vmcnt(0)
	v_mul_f32_e32 v6, v3, v1
	v_mul_f32_e32 v1, v2, v1
	v_fmac_f32_e32 v6, v2, v0
	v_fma_f32 v2, v0, v3, -v1
	v_cvt_f64_f32_e32 v[0:1], v6
	v_cvt_f64_f32_e32 v[2:3], v2
	v_mov_b32_e32 v6, s3
	v_addc_co_u32_e32 v5, vcc, v5, v6, vcc
	v_mul_f64 v[0:1], v[0:1], s[0:1]
	v_mul_f64 v[2:3], v[2:3], s[0:1]
	v_add_co_u32_e32 v10, vcc, s12, v96
	v_cvt_f32_f64_e32 v0, v[0:1]
	v_cvt_f32_f64_e32 v1, v[2:3]
	global_store_dwordx2 v[4:5], v[0:1], off
	global_load_dwordx2 v[6:7], v96, s[12:13] offset:3640
	v_add_u32_e32 v0, 0xc00, v12
	ds_read2_b64 v[0:3], v0 offset0:71 offset1:136
	s_waitcnt vmcnt(0) lgkmcnt(0)
	v_mul_f32_e32 v8, v1, v7
	v_mul_f32_e32 v7, v0, v7
	v_fmac_f32_e32 v8, v0, v6
	v_fma_f32 v6, v6, v1, -v7
	v_cvt_f64_f32_e32 v[0:1], v8
	v_cvt_f64_f32_e32 v[6:7], v6
	v_mov_b32_e32 v8, s13
	v_addc_co_u32_e32 v11, vcc, 0, v8, vcc
	v_mul_f64 v[0:1], v[0:1], s[0:1]
	v_mul_f64 v[6:7], v[6:7], s[0:1]
	v_add_co_u32_e32 v8, vcc, s4, v10
	v_addc_co_u32_e32 v9, vcc, 0, v11, vcc
	v_add_co_u32_e32 v4, vcc, s2, v4
	v_cvt_f32_f64_e32 v0, v[0:1]
	v_cvt_f32_f64_e32 v1, v[6:7]
	v_addc_co_u32_e32 v5, vcc, v5, v13, vcc
	s_movk_i32 s4, 0x2000
	global_store_dwordx2 v[4:5], v[0:1], off
	global_load_dwordx2 v[0:1], v[8:9], off offset:64
	v_add_co_u32_e32 v4, vcc, s2, v4
	s_waitcnt vmcnt(0)
	v_mul_f32_e32 v6, v3, v1
	v_mul_f32_e32 v1, v2, v1
	v_fmac_f32_e32 v6, v2, v0
	v_fma_f32 v2, v0, v3, -v1
	v_cvt_f64_f32_e32 v[0:1], v6
	v_cvt_f64_f32_e32 v[2:3], v2
	v_mov_b32_e32 v6, s3
	v_addc_co_u32_e32 v5, vcc, v5, v6, vcc
	v_mul_f64 v[0:1], v[0:1], s[0:1]
	v_mul_f64 v[2:3], v[2:3], s[0:1]
	v_cvt_f32_f64_e32 v0, v[0:1]
	v_cvt_f32_f64_e32 v1, v[2:3]
	global_store_dwordx2 v[4:5], v[0:1], off
	global_load_dwordx2 v[6:7], v[8:9], off offset:584
	v_add_u32_e32 v0, 0x1000, v12
	ds_read2_b64 v[0:3], v0 offset0:73 offset1:138
	v_add_co_u32_e32 v4, vcc, s2, v4
	s_waitcnt vmcnt(0) lgkmcnt(0)
	v_mul_f32_e32 v13, v1, v7
	v_mul_f32_e32 v7, v0, v7
	v_fmac_f32_e32 v13, v0, v6
	v_fma_f32 v6, v6, v1, -v7
	v_cvt_f64_f32_e32 v[0:1], v13
	v_cvt_f64_f32_e32 v[6:7], v6
	v_mov_b32_e32 v13, s3
	v_addc_co_u32_e32 v5, vcc, v5, v13, vcc
	v_mul_f64 v[0:1], v[0:1], s[0:1]
	v_mul_f64 v[6:7], v[6:7], s[0:1]
	v_cvt_f32_f64_e32 v0, v[0:1]
	v_cvt_f32_f64_e32 v1, v[6:7]
	global_store_dwordx2 v[4:5], v[0:1], off
	global_load_dwordx2 v[0:1], v[8:9], off offset:1104
	v_add_co_u32_e32 v4, vcc, s2, v4
	s_waitcnt vmcnt(0)
	v_mul_f32_e32 v6, v3, v1
	v_mul_f32_e32 v1, v2, v1
	v_fmac_f32_e32 v6, v2, v0
	v_fma_f32 v2, v0, v3, -v1
	v_cvt_f64_f32_e32 v[0:1], v6
	v_cvt_f64_f32_e32 v[2:3], v2
	v_mov_b32_e32 v6, s3
	v_addc_co_u32_e32 v5, vcc, v5, v6, vcc
	v_mul_f64 v[0:1], v[0:1], s[0:1]
	v_mul_f64 v[2:3], v[2:3], s[0:1]
	v_cvt_f32_f64_e32 v0, v[0:1]
	v_cvt_f32_f64_e32 v1, v[2:3]
	global_store_dwordx2 v[4:5], v[0:1], off
	global_load_dwordx2 v[6:7], v[8:9], off offset:1624
	v_add_u32_e32 v0, 0x1400, v12
	ds_read2_b64 v[0:3], v0 offset0:75 offset1:140
	v_add_co_u32_e32 v4, vcc, s2, v4
	s_waitcnt vmcnt(0) lgkmcnt(0)
	v_mul_f32_e32 v13, v1, v7
	v_mul_f32_e32 v7, v0, v7
	v_fmac_f32_e32 v13, v0, v6
	v_fma_f32 v6, v6, v1, -v7
	v_cvt_f64_f32_e32 v[0:1], v13
	v_cvt_f64_f32_e32 v[6:7], v6
	v_mov_b32_e32 v13, s3
	v_addc_co_u32_e32 v5, vcc, v5, v13, vcc
	v_mul_f64 v[0:1], v[0:1], s[0:1]
	v_mul_f64 v[6:7], v[6:7], s[0:1]
	v_cvt_f32_f64_e32 v0, v[0:1]
	v_cvt_f32_f64_e32 v1, v[6:7]
	;; [unrolled: 34-line block ×3, first 2 shown]
	global_store_dwordx2 v[4:5], v[0:1], off
	global_load_dwordx2 v[0:1], v[8:9], off offset:3184
	v_add_co_u32_e32 v4, vcc, s2, v4
	s_waitcnt vmcnt(0)
	v_mul_f32_e32 v6, v3, v1
	v_mul_f32_e32 v1, v2, v1
	v_fmac_f32_e32 v6, v2, v0
	v_fma_f32 v2, v0, v3, -v1
	v_cvt_f64_f32_e32 v[0:1], v6
	v_cvt_f64_f32_e32 v[2:3], v2
	v_mov_b32_e32 v6, s3
	v_addc_co_u32_e32 v5, vcc, v5, v6, vcc
	v_mul_f64 v[0:1], v[0:1], s[0:1]
	v_mul_f64 v[2:3], v[2:3], s[0:1]
	v_cvt_f32_f64_e32 v0, v[0:1]
	v_cvt_f32_f64_e32 v1, v[2:3]
	global_store_dwordx2 v[4:5], v[0:1], off
	global_load_dwordx2 v[6:7], v[8:9], off offset:3704
	v_add_u32_e32 v0, 0x1c00, v12
	ds_read2_b64 v[0:3], v0 offset0:79 offset1:144
	v_mov_b32_e32 v12, s3
	s_waitcnt vmcnt(0) lgkmcnt(0)
	v_mul_f32_e32 v8, v1, v7
	v_mul_f32_e32 v7, v0, v7
	v_fmac_f32_e32 v8, v0, v6
	v_fma_f32 v6, v6, v1, -v7
	v_cvt_f64_f32_e32 v[0:1], v8
	v_cvt_f64_f32_e32 v[6:7], v6
	v_add_co_u32_e32 v8, vcc, s4, v10
	v_mul_f64 v[0:1], v[0:1], s[0:1]
	v_mul_f64 v[6:7], v[6:7], s[0:1]
	v_addc_co_u32_e32 v9, vcc, 0, v11, vcc
	v_add_co_u32_e32 v4, vcc, s2, v4
	v_addc_co_u32_e32 v5, vcc, v5, v12, vcc
	v_cvt_f32_f64_e32 v0, v[0:1]
	v_cvt_f32_f64_e32 v1, v[6:7]
	global_store_dwordx2 v[4:5], v[0:1], off
	global_load_dwordx2 v[0:1], v[8:9], off offset:128
	s_waitcnt vmcnt(0)
	v_mul_f32_e32 v6, v3, v1
	v_mul_f32_e32 v1, v2, v1
	v_fmac_f32_e32 v6, v2, v0
	v_fma_f32 v2, v0, v3, -v1
	v_cvt_f64_f32_e32 v[0:1], v6
	v_cvt_f64_f32_e32 v[2:3], v2
	v_mov_b32_e32 v6, s3
	v_mul_f64 v[0:1], v[0:1], s[0:1]
	v_mul_f64 v[2:3], v[2:3], s[0:1]
	v_cvt_f32_f64_e32 v0, v[0:1]
	v_cvt_f32_f64_e32 v1, v[2:3]
	v_add_co_u32_e32 v2, vcc, s2, v4
	v_addc_co_u32_e32 v3, vcc, v5, v6, vcc
	global_store_dwordx2 v[2:3], v[0:1], off
.LBB0_23:
	s_endpgm
	.section	.rodata,"a",@progbits
	.p2align	6, 0x0
	.amdhsa_kernel bluestein_single_fwd_len1105_dim1_sp_op_CI_CI
		.amdhsa_group_segment_fixed_size 26520
		.amdhsa_private_segment_fixed_size 28
		.amdhsa_kernarg_size 104
		.amdhsa_user_sgpr_count 6
		.amdhsa_user_sgpr_private_segment_buffer 1
		.amdhsa_user_sgpr_dispatch_ptr 0
		.amdhsa_user_sgpr_queue_ptr 0
		.amdhsa_user_sgpr_kernarg_segment_ptr 1
		.amdhsa_user_sgpr_dispatch_id 0
		.amdhsa_user_sgpr_flat_scratch_init 0
		.amdhsa_user_sgpr_private_segment_size 0
		.amdhsa_uses_dynamic_stack 0
		.amdhsa_system_sgpr_private_segment_wavefront_offset 1
		.amdhsa_system_sgpr_workgroup_id_x 1
		.amdhsa_system_sgpr_workgroup_id_y 0
		.amdhsa_system_sgpr_workgroup_id_z 0
		.amdhsa_system_sgpr_workgroup_info 0
		.amdhsa_system_vgpr_workitem_id 0
		.amdhsa_next_free_vgpr 256
		.amdhsa_next_free_sgpr 28
		.amdhsa_reserve_vcc 1
		.amdhsa_reserve_flat_scratch 0
		.amdhsa_float_round_mode_32 0
		.amdhsa_float_round_mode_16_64 0
		.amdhsa_float_denorm_mode_32 3
		.amdhsa_float_denorm_mode_16_64 3
		.amdhsa_dx10_clamp 1
		.amdhsa_ieee_mode 1
		.amdhsa_fp16_overflow 0
		.amdhsa_exception_fp_ieee_invalid_op 0
		.amdhsa_exception_fp_denorm_src 0
		.amdhsa_exception_fp_ieee_div_zero 0
		.amdhsa_exception_fp_ieee_overflow 0
		.amdhsa_exception_fp_ieee_underflow 0
		.amdhsa_exception_fp_ieee_inexact 0
		.amdhsa_exception_int_div_zero 0
	.end_amdhsa_kernel
	.text
.Lfunc_end0:
	.size	bluestein_single_fwd_len1105_dim1_sp_op_CI_CI, .Lfunc_end0-bluestein_single_fwd_len1105_dim1_sp_op_CI_CI
                                        ; -- End function
	.section	.AMDGPU.csdata,"",@progbits
; Kernel info:
; codeLenInByte = 24064
; NumSgprs: 32
; NumVgprs: 256
; ScratchSize: 28
; MemoryBound: 0
; FloatMode: 240
; IeeeMode: 1
; LDSByteSize: 26520 bytes/workgroup (compile time only)
; SGPRBlocks: 3
; VGPRBlocks: 63
; NumSGPRsForWavesPerEU: 32
; NumVGPRsForWavesPerEU: 256
; Occupancy: 1
; WaveLimiterHint : 1
; COMPUTE_PGM_RSRC2:SCRATCH_EN: 1
; COMPUTE_PGM_RSRC2:USER_SGPR: 6
; COMPUTE_PGM_RSRC2:TRAP_HANDLER: 0
; COMPUTE_PGM_RSRC2:TGID_X_EN: 1
; COMPUTE_PGM_RSRC2:TGID_Y_EN: 0
; COMPUTE_PGM_RSRC2:TGID_Z_EN: 0
; COMPUTE_PGM_RSRC2:TIDIG_COMP_CNT: 0
	.type	__hip_cuid_2794217f597a4c7a,@object ; @__hip_cuid_2794217f597a4c7a
	.section	.bss,"aw",@nobits
	.globl	__hip_cuid_2794217f597a4c7a
__hip_cuid_2794217f597a4c7a:
	.byte	0                               ; 0x0
	.size	__hip_cuid_2794217f597a4c7a, 1

	.ident	"AMD clang version 19.0.0git (https://github.com/RadeonOpenCompute/llvm-project roc-6.4.0 25133 c7fe45cf4b819c5991fe208aaa96edf142730f1d)"
	.section	".note.GNU-stack","",@progbits
	.addrsig
	.addrsig_sym __hip_cuid_2794217f597a4c7a
	.amdgpu_metadata
---
amdhsa.kernels:
  - .args:
      - .actual_access:  read_only
        .address_space:  global
        .offset:         0
        .size:           8
        .value_kind:     global_buffer
      - .actual_access:  read_only
        .address_space:  global
        .offset:         8
        .size:           8
        .value_kind:     global_buffer
      - .actual_access:  read_only
        .address_space:  global
        .offset:         16
        .size:           8
        .value_kind:     global_buffer
      - .actual_access:  read_only
        .address_space:  global
        .offset:         24
        .size:           8
        .value_kind:     global_buffer
      - .actual_access:  read_only
        .address_space:  global
        .offset:         32
        .size:           8
        .value_kind:     global_buffer
      - .offset:         40
        .size:           8
        .value_kind:     by_value
      - .address_space:  global
        .offset:         48
        .size:           8
        .value_kind:     global_buffer
      - .address_space:  global
        .offset:         56
        .size:           8
        .value_kind:     global_buffer
      - .address_space:  global
        .offset:         64
        .size:           8
        .value_kind:     global_buffer
      - .address_space:  global
        .offset:         72
        .size:           8
        .value_kind:     global_buffer
      - .offset:         80
        .size:           4
        .value_kind:     by_value
      - .address_space:  global
        .offset:         88
        .size:           8
        .value_kind:     global_buffer
      - .address_space:  global
        .offset:         96
        .size:           8
        .value_kind:     global_buffer
    .group_segment_fixed_size: 26520
    .kernarg_segment_align: 8
    .kernarg_segment_size: 104
    .language:       OpenCL C
    .language_version:
      - 2
      - 0
    .max_flat_workgroup_size: 255
    .name:           bluestein_single_fwd_len1105_dim1_sp_op_CI_CI
    .private_segment_fixed_size: 28
    .sgpr_count:     32
    .sgpr_spill_count: 0
    .symbol:         bluestein_single_fwd_len1105_dim1_sp_op_CI_CI.kd
    .uniform_work_group_size: 1
    .uses_dynamic_stack: false
    .vgpr_count:     256
    .vgpr_spill_count: 6
    .wavefront_size: 64
amdhsa.target:   amdgcn-amd-amdhsa--gfx906
amdhsa.version:
  - 1
  - 2
...

	.end_amdgpu_metadata
